;; amdgpu-corpus repo=ROCm/rocFFT kind=compiled arch=gfx1201 opt=O3
	.text
	.amdgcn_target "amdgcn-amd-amdhsa--gfx1201"
	.amdhsa_code_object_version 6
	.protected	bluestein_single_back_len182_dim1_sp_op_CI_CI ; -- Begin function bluestein_single_back_len182_dim1_sp_op_CI_CI
	.globl	bluestein_single_back_len182_dim1_sp_op_CI_CI
	.p2align	8
	.type	bluestein_single_back_len182_dim1_sp_op_CI_CI,@function
bluestein_single_back_len182_dim1_sp_op_CI_CI: ; @bluestein_single_back_len182_dim1_sp_op_CI_CI
; %bb.0:
	s_load_b128 s[12:15], s[0:1], 0x28
	v_mul_u32_u24_e32 v1, 0x13b2, v0
	v_mov_b32_e32 v75, 0
	s_mov_b32 s2, exec_lo
	s_delay_alu instid0(VALU_DEP_2) | instskip(NEXT) | instid1(VALU_DEP_1)
	v_lshrrev_b32_e32 v2, 16, v1
	v_lshl_add_u32 v74, ttmp9, 2, v2
	s_wait_kmcnt 0x0
	s_delay_alu instid0(VALU_DEP_1)
	v_cmpx_gt_u64_e64 s[12:13], v[74:75]
	s_cbranch_execz .LBB0_15
; %bb.1:
	s_clause 0x1
	s_load_b128 s[4:7], s[0:1], 0x18
	s_load_b64 s[2:3], s[0:1], 0x0
	v_mul_lo_u16 v1, v2, 13
	s_delay_alu instid0(VALU_DEP_1) | instskip(NEXT) | instid1(VALU_DEP_1)
	v_sub_nc_u16 v33, v0, v1
	v_and_b32_e32 v117, 0xffff, v33
	s_wait_kmcnt 0x0
	s_load_b128 s[8:11], s[4:5], 0x0
	s_wait_kmcnt 0x0
	v_mad_co_u64_u32 v[0:1], null, s10, v74, 0
	v_mad_co_u64_u32 v[3:4], null, s8, v117, 0
	s_mul_u64 s[4:5], s[8:9], 0x70
	s_delay_alu instid0(VALU_DEP_2) | instskip(SKIP_2) | instid1(VALU_DEP_2)
	v_mad_co_u64_u32 v[5:6], null, s11, v74, v[1:2]
	s_load_b64 s[10:11], s[0:1], 0x38
	v_and_b32_e32 v2, 3, v2
	v_mad_co_u64_u32 v[6:7], null, s9, v117, v[4:5]
	v_mov_b32_e32 v1, v5
	s_delay_alu instid0(VALU_DEP_3) | instskip(NEXT) | instid1(VALU_DEP_2)
	v_mul_u32_u24_e32 v114, 0xb6, v2
	v_lshlrev_b64_e32 v[0:1], 3, v[0:1]
	s_delay_alu instid0(VALU_DEP_4) | instskip(SKIP_1) | instid1(VALU_DEP_3)
	v_mov_b32_e32 v4, v6
	v_or_b32_e32 v116, 0x70, v117
	v_add_co_u32 v0, vcc_lo, s14, v0
	s_delay_alu instid0(VALU_DEP_3) | instskip(NEXT) | instid1(VALU_DEP_3)
	v_lshlrev_b64_e32 v[3:4], 3, v[3:4]
	v_mad_co_u64_u32 v[5:6], null, s8, v116, 0
	v_add_co_ci_u32_e32 v1, vcc_lo, s15, v1, vcc_lo
	s_delay_alu instid0(VALU_DEP_3) | instskip(SKIP_1) | instid1(VALU_DEP_2)
	v_add_co_u32 v3, vcc_lo, v0, v3
	s_wait_alu 0xfffd
	v_add_co_ci_u32_e32 v4, vcc_lo, v1, v4, vcc_lo
	s_delay_alu instid0(VALU_DEP_4) | instskip(NEXT) | instid1(VALU_DEP_3)
	v_mad_co_u64_u32 v[6:7], null, s9, v116, v[6:7]
	v_add_co_u32 v7, vcc_lo, v3, s4
	s_wait_alu 0xfffd
	s_delay_alu instid0(VALU_DEP_3)
	v_add_co_ci_u32_e32 v8, vcc_lo, s5, v4, vcc_lo
	global_load_b64 v[3:4], v[3:4], off
	v_add_co_u32 v9, vcc_lo, v7, s4
	s_wait_alu 0xfffd
	v_add_co_ci_u32_e32 v10, vcc_lo, s5, v8, vcc_lo
	v_lshlrev_b64_e32 v[5:6], 3, v[5:6]
	s_delay_alu instid0(VALU_DEP_3) | instskip(SKIP_1) | instid1(VALU_DEP_3)
	v_add_co_u32 v11, vcc_lo, v9, s4
	s_wait_alu 0xfffd
	v_add_co_ci_u32_e32 v12, vcc_lo, s5, v10, vcc_lo
	s_delay_alu instid0(VALU_DEP_2) | instskip(SKIP_1) | instid1(VALU_DEP_2)
	v_add_co_u32 v13, vcc_lo, v11, s4
	s_wait_alu 0xfffd
	v_add_co_ci_u32_e32 v14, vcc_lo, s5, v12, vcc_lo
	v_add_co_u32 v5, vcc_lo, v0, v5
	s_wait_alu 0xfffd
	v_add_co_ci_u32_e32 v6, vcc_lo, v1, v6, vcc_lo
	;; [unrolled: 3-line block ×3, first 2 shown]
	global_load_b64 v[5:6], v[5:6], off
	v_lshlrev_b32_e32 v113, 3, v117
	v_add_co_u32 v17, vcc_lo, v15, s4
	s_wait_alu 0xfffd
	v_add_co_ci_u32_e32 v18, vcc_lo, s5, v16, vcc_lo
	s_clause 0x1
	global_load_b64 v[97:98], v113, s[2:3]
	global_load_b64 v[72:73], v113, s[2:3] offset:896
	v_add_co_u32 v19, vcc_lo, v17, s4
	s_wait_alu 0xfffd
	v_add_co_ci_u32_e32 v20, vcc_lo, s5, v18, vcc_lo
	s_delay_alu instid0(VALU_DEP_1) | instskip(NEXT) | instid1(VALU_DEP_1)
	v_mad_co_u64_u32 v[21:22], null, 0xe0, s8, v[19:20]
	v_mad_co_u64_u32 v[22:23], null, 0xe0, s9, v[22:23]
	s_delay_alu instid0(VALU_DEP_2) | instskip(SKIP_1) | instid1(VALU_DEP_2)
	v_add_co_u32 v23, vcc_lo, v21, s4
	s_wait_alu 0xfffd
	v_add_co_ci_u32_e32 v24, vcc_lo, s5, v22, vcc_lo
	s_delay_alu instid0(VALU_DEP_2) | instskip(SKIP_1) | instid1(VALU_DEP_2)
	v_add_co_u32 v25, vcc_lo, v23, s4
	s_wait_alu 0xfffd
	v_add_co_ci_u32_e32 v26, vcc_lo, s5, v24, vcc_lo
	;; [unrolled: 4-line block ×3, first 2 shown]
	v_cmp_eq_u16_e32 vcc_lo, 0, v33
	s_wait_loadcnt 0x1
	v_mul_f32_e32 v2, v4, v98
	global_load_b64 v[95:96], v113, s[2:3] offset:112
	s_clause 0x1
	global_load_b64 v[7:8], v[7:8], off
	global_load_b64 v[9:10], v[9:10], off
	s_clause 0x1
	global_load_b64 v[93:94], v113, s[2:3] offset:224
	global_load_b64 v[89:90], v113, s[2:3] offset:336
	s_clause 0x1
	global_load_b64 v[11:12], v[11:12], off
	global_load_b64 v[13:14], v[13:14], off
	;; [unrolled: 1-line block ×3, first 2 shown]
	s_clause 0x5
	global_load_b64 v[91:92], v113, s[2:3] offset:448
	global_load_b64 v[87:88], v113, s[2:3] offset:560
	;; [unrolled: 1-line block ×6, first 2 shown]
	global_load_b64 v[17:18], v[17:18], off
	global_load_b64 v[19:20], v[19:20], off
	;; [unrolled: 1-line block ×4, first 2 shown]
	global_load_b64 v[79:80], v113, s[2:3] offset:1232
	global_load_b64 v[25:26], v[25:26], off
	global_load_b64 v[81:82], v113, s[2:3] offset:1344
	global_load_b64 v[27:28], v[27:28], off
	s_wait_loadcnt 0x16
	v_dual_mul_f32 v30, v3, v98 :: v_dual_mul_f32 v29, v6, v73
	v_dual_fmac_f32 v2, v3, v97 :: v_dual_lshlrev_b32 v115, 3, v114
	v_mul_f32_e32 v31, v5, v73
	s_delay_alu instid0(VALU_DEP_3) | instskip(NEXT) | instid1(VALU_DEP_3)
	v_fma_f32 v3, v4, v97, -v30
	v_dual_fmac_f32 v29, v5, v72 :: v_dual_add_nc_u32 v118, v115, v113
	s_load_b128 s[4:7], s[6:7], 0x0
	s_wait_loadcnt 0x12
	v_mul_f32_e32 v34, v9, v94
	v_mul_f32_e32 v4, v8, v96
	v_mul_f32_e32 v32, v7, v96
	v_fma_f32 v30, v6, v72, -v31
	s_wait_loadcnt 0x10
	v_mul_f32_e32 v31, v12, v90
	v_mul_f32_e32 v6, v10, v94
	v_fmac_f32_e32 v4, v7, v95
	v_fma_f32 v5, v8, v95, -v32
	s_wait_loadcnt 0xd
	v_dual_mul_f32 v8, v14, v92 :: v_dual_fmac_f32 v31, v11, v89
	v_dual_fmac_f32 v6, v9, v93 :: v_dual_mul_f32 v9, v11, v90
	v_mul_f32_e32 v11, v13, v92
	ds_store_2addr_b64 v118, v[2:3], v[4:5] offset1:14
	s_wait_loadcnt 0x7
	v_mul_f32_e32 v3, v17, v86
	v_fmac_f32_e32 v8, v13, v91
	v_fma_f32 v32, v12, v89, -v9
	v_fma_f32 v9, v14, v91, -v11
	v_mul_f32_e32 v12, v18, v86
	v_fma_f32 v13, v18, v85, -v3
	s_wait_loadcnt 0x6
	v_mul_f32_e32 v3, v19, v84
	v_fma_f32 v7, v10, v93, -v34
	s_wait_loadcnt 0x5
	v_dual_mul_f32 v10, v16, v88 :: v_dual_mul_f32 v5, v21, v78
	v_mul_f32_e32 v34, v15, v88
	v_mul_f32_e32 v2, v20, v84
	;; [unrolled: 1-line block ×3, first 2 shown]
	s_delay_alu instid0(VALU_DEP_4)
	v_fmac_f32_e32 v10, v15, v87
	v_fmac_f32_e32 v12, v17, v85
	v_fma_f32 v11, v16, v87, -v34
	ds_store_2addr_b64 v118, v[6:7], v[31:32] offset0:28 offset1:42
	ds_store_2addr_b64 v118, v[8:9], v[10:11] offset0:56 offset1:70
	s_wait_loadcnt 0x0
	v_dual_mul_f32 v11, v27, v82 :: v_dual_mul_f32 v6, v24, v76
	v_mul_f32_e32 v7, v23, v76
	v_mul_f32_e32 v8, v26, v80
	v_dual_mul_f32 v9, v25, v80 :: v_dual_mul_f32 v10, v28, v82
	v_fmac_f32_e32 v2, v19, v83
	v_fma_f32 v3, v20, v83, -v3
	v_fmac_f32_e32 v4, v21, v77
	v_fma_f32 v5, v22, v77, -v5
	;; [unrolled: 2-line block ×5, first 2 shown]
	ds_store_2addr_b64 v118, v[12:13], v[2:3] offset0:84 offset1:98
	ds_store_2addr_b64 v118, v[29:30], v[4:5] offset0:112 offset1:126
	;; [unrolled: 1-line block ×3, first 2 shown]
	ds_store_b64 v118, v[10:11] offset:1344
	s_and_saveexec_b32 s12, vcc_lo
	s_cbranch_execz .LBB0_3
; %bb.2:
	v_mad_co_u64_u32 v[2:3], null, 0x68, s8, v[0:1]
	v_mad_co_u64_u32 v[4:5], null, 0xd8, s8, v[0:1]
	;; [unrolled: 1-line block ×5, first 2 shown]
	s_delay_alu instid0(VALU_DEP_4)
	v_mad_co_u64_u32 v[12:13], null, 0x68, s9, v[3:4]
	v_mad_co_u64_u32 v[13:14], null, 0x298, s8, v[0:1]
	v_mov_b32_e32 v3, v5
	v_mov_b32_e32 v5, v7
	;; [unrolled: 1-line block ×4, first 2 shown]
	v_mad_co_u64_u32 v[22:23], null, 0x3e8, s8, v[0:1]
	v_mad_co_u64_u32 v[15:16], null, 0xd8, s9, v[3:4]
	s_delay_alu instid0(VALU_DEP_4)
	v_mad_co_u64_u32 v[16:17], null, 0x1b8, s9, v[7:8]
	v_mov_b32_e32 v3, v12
	v_mad_co_u64_u32 v[11:12], null, 0x148, s9, v[5:6]
	v_mad_co_u64_u32 v[19:20], null, 0x228, s9, v[9:10]
	;; [unrolled: 1-line block ×3, first 2 shown]
	v_mov_b32_e32 v12, v14
	v_mad_co_u64_u32 v[20:21], null, 0x378, s8, v[0:1]
	v_mov_b32_e32 v9, v16
	v_mad_co_u64_u32 v[24:25], null, 0x458, s8, v[0:1]
	;; [unrolled: 2-line block ×3, first 2 shown]
	v_mov_b32_e32 v14, v18
	v_dual_mov_b32 v12, v21 :: v_dual_mov_b32 v7, v11
	v_mov_b32_e32 v11, v19
	s_delay_alu instid0(VALU_DEP_3) | instskip(SKIP_1) | instid1(VALU_DEP_4)
	v_mad_co_u64_u32 v[18:19], null, 0x308, s9, v[14:15]
	v_mov_b32_e32 v14, v15
	v_mad_co_u64_u32 v[15:16], null, 0x378, s9, v[12:13]
	v_mov_b32_e32 v12, v23
	global_load_b64 v[2:3], v[2:3], off
	v_mad_co_u64_u32 v[26:27], null, 0x3e8, s9, v[12:13]
	v_mad_co_u64_u32 v[27:28], null, 0x4c8, s8, v[0:1]
	v_mov_b32_e32 v21, v15
	v_mad_co_u64_u32 v[15:16], null, 0x538, s8, v[0:1]
	v_mov_b32_e32 v12, v25
	v_mad_co_u64_u32 v[0:1], null, 0x5a8, s8, v[0:1]
	v_mov_b32_e32 v19, v28
	v_mov_b32_e32 v23, v26
	s_delay_alu instid0(VALU_DEP_4) | instskip(SKIP_1) | instid1(VALU_DEP_4)
	v_mad_co_u64_u32 v[25:26], null, 0x458, s9, v[12:13]
	v_mov_b32_e32 v12, v16
	v_mad_co_u64_u32 v[28:29], null, 0x4c8, s9, v[19:20]
	s_delay_alu instid0(VALU_DEP_2) | instskip(NEXT) | instid1(VALU_DEP_1)
	v_mad_co_u64_u32 v[29:30], null, 0x538, s9, v[12:13]
	v_mov_b32_e32 v16, v29
	s_clause 0x8
	global_load_b64 v[4:5], v[4:5], off
	global_load_b64 v[6:7], v[6:7], off
	;; [unrolled: 1-line block ×9, first 2 shown]
	s_wait_loadcnt 0x9
	v_mad_co_u64_u32 v[30:31], null, 0x5a8, s9, v[1:2]
	s_delay_alu instid0(VALU_DEP_1)
	v_mov_b32_e32 v1, v30
	s_clause 0x2
	global_load_b64 v[25:26], v[27:28], off
	global_load_b64 v[14:15], v[15:16], off
	;; [unrolled: 1-line block ×3, first 2 shown]
	s_clause 0xc
	s_load_b64 s[8:9], s[2:3], 0x68
	s_load_b64 s[14:15], s[2:3], 0xd8
	;; [unrolled: 1-line block ×13, first 2 shown]
	s_wait_kmcnt 0x0
	v_dual_mul_f32 v27, s9, v3 :: v_dual_mul_f32 v28, s9, v2
	s_delay_alu instid0(VALU_DEP_1)
	v_fma_f32 v28, v3, s8, -v28
	s_wait_loadcnt 0xb
	v_dual_mul_f32 v29, s15, v5 :: v_dual_mul_f32 v30, s15, v4
	s_wait_loadcnt 0x6
	v_dual_mul_f32 v31, s17, v7 :: v_dual_mul_f32 v40, s25, v17
	v_dual_mul_f32 v32, s17, v6 :: v_dual_mul_f32 v33, s19, v9
	s_wait_loadcnt 0x5
	v_mul_f32_e32 v42, s27, v19
	v_dual_mul_f32 v34, s19, v8 :: v_dual_mul_f32 v35, s21, v11
	s_wait_loadcnt 0x4
	v_mul_f32_e32 v44, s29, v21
	;; [unrolled: 3-line block ×3, first 2 shown]
	v_mul_f32_e32 v38, s23, v12
	v_dual_mul_f32 v16, s25, v18 :: v_dual_mul_f32 v39, s27, v20
	v_mul_f32_e32 v41, s29, v22
	v_mul_f32_e32 v43, s31, v24
	v_fmac_f32_e32 v27, s8, v2
	v_fmac_f32_e32 v29, s14, v4
	v_fma_f32 v30, v5, s14, -v30
	v_fmac_f32_e32 v31, s16, v6
	v_fma_f32 v32, v7, s16, -v32
	;; [unrolled: 2-line block ×6, first 2 shown]
	v_fma_f32 v40, v20, s26, -v42
	v_fmac_f32_e32 v41, s28, v21
	v_fma_f32 v42, v22, s28, -v44
	v_fma_f32 v44, v24, s30, -v46
	s_wait_loadcnt 0x2
	v_mul_f32_e32 v45, s35, v26
	s_wait_loadcnt 0x1
	v_mul_f32_e32 v50, s37, v14
	v_dual_mul_f32 v48, s35, v25 :: v_dual_mul_f32 v47, s37, v15
	s_wait_loadcnt 0x0
	v_mul_f32_e32 v49, s39, v1
	v_mul_f32_e32 v51, s39, v0
	v_fmac_f32_e32 v39, s26, v19
	v_fmac_f32_e32 v43, s30, v23
	;; [unrolled: 1-line block ×3, first 2 shown]
	v_fma_f32 v46, v26, s34, -v48
	v_fmac_f32_e32 v47, s36, v14
	v_fma_f32 v48, v15, s36, -v50
	v_fmac_f32_e32 v49, s38, v0
	v_fma_f32 v50, v1, s38, -v51
	ds_store_2addr_b64 v115, v[27:28], v[29:30] offset0:13 offset1:27
	ds_store_2addr_b64 v115, v[31:32], v[33:34] offset0:41 offset1:55
	;; [unrolled: 1-line block ×6, first 2 shown]
	ds_store_b64 v115, v[49:50] offset:1448
.LBB0_3:
	s_wait_alu 0xfffe
	s_or_b32 exec_lo, exec_lo, s12
	global_wb scope:SCOPE_SE
	s_wait_dscnt 0x0
	s_wait_kmcnt 0x0
	s_barrier_signal -1
	s_barrier_wait -1
	global_inv scope:SCOPE_SE
	ds_load_2addr_b64 v[44:47], v118 offset1:14
	ds_load_2addr_b64 v[36:39], v118 offset0:28 offset1:42
	ds_load_2addr_b64 v[28:31], v118 offset0:56 offset1:70
	;; [unrolled: 1-line block ×5, first 2 shown]
	ds_load_b64 v[52:53], v118 offset:1344
	s_load_b64 s[0:1], s[0:1], 0x8
	v_add_co_u32 v48, s8, s2, v113
	v_mov_b32_e32 v4, 0
	s_wait_alu 0xf1ff
	v_add_co_ci_u32_e64 v49, null, s3, 0, s8
	v_mov_b32_e32 v5, 0
                                        ; kill: def $vgpr6 killed $sgpr0 killed $exec
                                        ; implicit-def: $vgpr10
                                        ; implicit-def: $vgpr12
                                        ; implicit-def: $vgpr24
                                        ; implicit-def: $vgpr50
                                        ; implicit-def: $vgpr18
                                        ; implicit-def: $vgpr22
	s_and_saveexec_b32 s8, vcc_lo
	s_cbranch_execz .LBB0_5
; %bb.4:
	ds_load_2addr_b64 v[4:7], v115 offset0:13 offset1:27
	ds_load_2addr_b64 v[20:23], v115 offset0:41 offset1:55
	ds_load_2addr_b64 v[16:19], v115 offset0:69 offset1:83
	ds_load_2addr_b64 v[8:11], v115 offset0:97 offset1:111
	ds_load_2addr_b64 v[12:15], v115 offset0:125 offset1:139
	ds_load_2addr_b64 v[24:27], v115 offset0:153 offset1:167
	ds_load_b64 v[50:51], v115 offset:1448
.LBB0_5:
	s_wait_alu 0xfffe
	s_or_b32 exec_lo, exec_lo, s8
	s_wait_dscnt 0x6
	v_dual_add_f32 v54, v44, v46 :: v_dual_add_f32 v55, v45, v47
	s_wait_dscnt 0x0
	v_dual_add_f32 v56, v52, v46 :: v_dual_sub_f32 v57, v47, v53
	v_dual_sub_f32 v46, v46, v52 :: v_dual_add_f32 v47, v53, v47
	s_delay_alu instid0(VALU_DEP_3) | instskip(NEXT) | instid1(VALU_DEP_3)
	v_dual_add_f32 v54, v54, v36 :: v_dual_add_f32 v55, v55, v37
	v_mul_f32_e32 v58, 0xbeedf032, v57
	s_delay_alu instid0(VALU_DEP_3) | instskip(SKIP_1) | instid1(VALU_DEP_4)
	v_dual_mul_f32 v60, 0xbf52af12, v57 :: v_dual_mul_f32 v61, 0xbf52af12, v46
	v_dual_mul_f32 v62, 0xbf7e222b, v57 :: v_dual_mul_f32 v63, 0xbf7e222b, v46
	v_dual_add_f32 v55, v55, v39 :: v_dual_add_f32 v54, v54, v38
	s_delay_alu instid0(VALU_DEP_4) | instskip(NEXT) | instid1(VALU_DEP_4)
	v_fma_f32 v65, 0x3f62ad3f, v56, -v58
	v_fma_f32 v67, 0x3f116cb1, v56, -v60
	s_delay_alu instid0(VALU_DEP_4) | instskip(NEXT) | instid1(VALU_DEP_4)
	v_fma_f32 v69, 0x3df6dbef, v56, -v62
	v_add_f32_e32 v55, v55, v29
	v_dual_mul_f32 v59, 0xbeedf032, v46 :: v_dual_add_f32 v54, v54, v28
	v_mul_f32_e32 v64, 0xbf6f5d39, v57
	v_add_f32_e32 v65, v44, v65
	s_delay_alu instid0(VALU_DEP_4) | instskip(NEXT) | instid1(VALU_DEP_4)
	v_add_f32_e32 v55, v55, v31
	v_fmamk_f32 v66, v47, 0x3f62ad3f, v59
	v_add_f32_e32 v54, v54, v30
	v_fma_f32 v59, 0x3f62ad3f, v47, -v59
	v_fmamk_f32 v68, v47, 0x3f116cb1, v61
	v_dual_add_f32 v55, v55, v1 :: v_dual_fmac_f32 v58, 0x3f62ad3f, v56
	v_fma_f32 v61, 0x3f116cb1, v47, -v61
	s_delay_alu instid0(VALU_DEP_4) | instskip(NEXT) | instid1(VALU_DEP_4)
	v_add_f32_e32 v59, v45, v59
	v_dual_add_f32 v68, v45, v68 :: v_dual_mul_f32 v71, 0xbf29c268, v57
	s_delay_alu instid0(VALU_DEP_4) | instskip(NEXT) | instid1(VALU_DEP_4)
	v_dual_add_f32 v55, v55, v3 :: v_dual_add_f32 v54, v54, v0
	v_dual_fmamk_f32 v70, v47, 0x3df6dbef, v63 :: v_dual_add_f32 v61, v45, v61
	s_delay_alu instid0(VALU_DEP_3) | instskip(NEXT) | instid1(VALU_DEP_3)
	v_fma_f32 v101, 0xbf3f9e67, v56, -v71
	v_dual_add_f32 v55, v55, v33 :: v_dual_add_f32 v54, v54, v2
	v_add_f32_e32 v67, v44, v67
	v_fmac_f32_e32 v71, 0xbf3f9e67, v56
	s_delay_alu instid0(VALU_DEP_3) | instskip(NEXT) | instid1(VALU_DEP_4)
	v_dual_mul_f32 v100, 0xbf29c268, v46 :: v_dual_add_f32 v55, v55, v35
	v_add_f32_e32 v54, v54, v32
	v_dual_fmac_f32 v60, 0x3f116cb1, v56 :: v_dual_add_f32 v69, v44, v69
	v_fma_f32 v63, 0x3df6dbef, v47, -v63
	s_delay_alu instid0(VALU_DEP_3) | instskip(SKIP_2) | instid1(VALU_DEP_3)
	v_dual_add_f32 v55, v55, v41 :: v_dual_add_f32 v54, v54, v34
	v_fmac_f32_e32 v62, 0x3df6dbef, v56
	v_dual_mul_f32 v57, 0xbe750f2a, v57 :: v_dual_sub_f32 v104, v37, v43
	v_dual_add_f32 v55, v55, v43 :: v_dual_add_f32 v54, v54, v40
	v_add_f32_e32 v66, v45, v66
	s_delay_alu instid0(VALU_DEP_4) | instskip(SKIP_1) | instid1(VALU_DEP_4)
	v_add_f32_e32 v62, v44, v62
	v_add_f32_e32 v71, v44, v71
	;; [unrolled: 1-line block ×4, first 2 shown]
	v_mul_f32_e32 v70, 0xbf6f5d39, v46
	v_add_f32_e32 v54, v54, v42
	v_mul_f32_e32 v46, 0xbe750f2a, v46
	v_fma_f32 v103, 0xbf788fa5, v56, -v57
	v_fmac_f32_e32 v57, 0xbf788fa5, v56
	s_delay_alu instid0(VALU_DEP_4) | instskip(SKIP_4) | instid1(VALU_DEP_3)
	v_dual_fmamk_f32 v99, v47, 0xbeb58ec6, v70 :: v_dual_add_f32 v52, v54, v52
	v_add_f32_e32 v101, v44, v101
	v_fma_f32 v54, 0xbeb58ec6, v56, -v64
	v_dual_fmac_f32 v64, 0xbeb58ec6, v56 :: v_dual_add_f32 v103, v44, v103
	v_fma_f32 v70, 0xbeb58ec6, v47, -v70
	v_dual_fmamk_f32 v105, v47, 0xbf788fa5, v46 :: v_dual_add_f32 v54, v44, v54
	s_delay_alu instid0(VALU_DEP_3) | instskip(NEXT) | instid1(VALU_DEP_3)
	v_dual_add_f32 v64, v44, v64 :: v_dual_add_f32 v37, v43, v37
	v_dual_add_f32 v70, v45, v70 :: v_dual_mul_f32 v107, 0xbf52af12, v104
	v_add_f32_e32 v106, v42, v36
	s_delay_alu instid0(VALU_DEP_4) | instskip(SKIP_2) | instid1(VALU_DEP_4)
	v_dual_sub_f32 v36, v36, v42 :: v_dual_add_f32 v105, v45, v105
	v_fma_f32 v42, 0xbf788fa5, v47, -v46
	v_dual_add_f32 v58, v44, v58 :: v_dual_add_f32 v63, v45, v63
	v_fma_f32 v46, 0x3f116cb1, v106, -v107
	v_fmamk_f32 v102, v47, 0xbf3f9e67, v100
	v_fma_f32 v100, 0xbf3f9e67, v47, -v100
	v_mul_f32_e32 v43, 0xbf52af12, v36
	v_dual_add_f32 v60, v44, v60 :: v_dual_add_f32 v99, v45, v99
	s_delay_alu instid0(VALU_DEP_4)
	v_add_f32_e32 v102, v45, v102
	v_add_f32_e32 v44, v44, v57
	;; [unrolled: 1-line block ×3, first 2 shown]
	v_fmamk_f32 v47, v37, 0x3f116cb1, v43
	v_dual_add_f32 v100, v45, v100 :: v_dual_fmac_f32 v107, 0x3f116cb1, v106
	v_dual_add_f32 v45, v46, v65 :: v_dual_mul_f32 v46, 0xbf6f5d39, v104
	s_delay_alu instid0(VALU_DEP_3)
	v_add_f32_e32 v47, v47, v66
	v_fma_f32 v43, 0x3f116cb1, v37, -v43
	v_mul_f32_e32 v65, 0xbe750f2a, v104
	global_wb scope:SCOPE_SE
	v_fma_f32 v57, 0xbeb58ec6, v106, -v46
	v_dual_mul_f32 v56, 0xbf6f5d39, v36 :: v_dual_add_f32 v43, v43, v59
	s_wait_kmcnt 0x0
	s_barrier_signal -1
	s_barrier_wait -1
	v_add_f32_e32 v57, v57, v67
	v_fmamk_f32 v59, v37, 0xbeb58ec6, v56
	v_fmac_f32_e32 v46, 0xbeb58ec6, v106
	v_fma_f32 v56, 0xbeb58ec6, v37, -v56
	v_fma_f32 v67, 0xbf788fa5, v106, -v65
	v_mul_f32_e32 v66, 0xbe750f2a, v36
	v_add_f32_e32 v59, v59, v68
	v_dual_add_f32 v46, v46, v60 :: v_dual_fmac_f32 v65, 0xbf788fa5, v106
	v_add_f32_e32 v56, v56, v61
	v_add_f32_e32 v67, v67, v69
	v_dual_add_f32 v58, v107, v58 :: v_dual_fmamk_f32 v61, v37, 0xbf788fa5, v66
	v_fma_f32 v66, 0xbf788fa5, v37, -v66
	v_mul_f32_e32 v60, 0x3f29c268, v104
	v_dual_add_f32 v62, v65, v62 :: v_dual_mul_f32 v65, 0x3f7e222b, v104
	s_delay_alu instid0(VALU_DEP_4) | instskip(NEXT) | instid1(VALU_DEP_4)
	v_add_f32_e32 v55, v61, v55
	v_add_f32_e32 v63, v66, v63
	s_delay_alu instid0(VALU_DEP_4)
	v_fma_f32 v68, 0xbf3f9e67, v106, -v60
	v_mul_f32_e32 v61, 0x3f29c268, v36
	v_fma_f32 v69, 0x3df6dbef, v106, -v65
	v_fmac_f32_e32 v60, 0xbf3f9e67, v106
	v_fmac_f32_e32 v65, 0x3df6dbef, v106
	v_add_f32_e32 v54, v68, v54
	v_fmamk_f32 v66, v37, 0xbf3f9e67, v61
	v_fma_f32 v61, 0xbf3f9e67, v37, -v61
	v_dual_mul_f32 v68, 0x3f7e222b, v36 :: v_dual_add_f32 v69, v69, v101
	v_add_f32_e32 v60, v60, v64
	s_delay_alu instid0(VALU_DEP_3) | instskip(SKIP_3) | instid1(VALU_DEP_4)
	v_dual_mul_f32 v36, 0x3eedf032, v36 :: v_dual_add_f32 v61, v61, v70
	v_dual_mul_f32 v70, 0x3eedf032, v104 :: v_dual_add_f32 v65, v65, v71
	v_sub_f32_e32 v71, v39, v41
	v_add_f32_e32 v39, v41, v39
	v_dual_add_f32 v66, v66, v99 :: v_dual_fmamk_f32 v101, v37, 0x3f62ad3f, v36
	s_delay_alu instid0(VALU_DEP_4) | instskip(SKIP_3) | instid1(VALU_DEP_4)
	v_fma_f32 v99, 0x3f62ad3f, v106, -v70
	v_fmamk_f32 v64, v37, 0x3df6dbef, v68
	v_fma_f32 v68, 0x3df6dbef, v37, -v68
	v_fma_f32 v36, 0x3f62ad3f, v37, -v36
	v_dual_fmac_f32 v70, 0x3f62ad3f, v106 :: v_dual_add_f32 v99, v99, v103
	s_delay_alu instid0(VALU_DEP_4) | instskip(NEXT) | instid1(VALU_DEP_4)
	v_dual_add_f32 v64, v64, v102 :: v_dual_add_f32 v101, v101, v105
	v_add_f32_e32 v68, v68, v100
	s_delay_alu instid0(VALU_DEP_3)
	v_dual_add_f32 v100, v40, v38 :: v_dual_add_f32 v41, v70, v44
	v_sub_f32_e32 v38, v38, v40
	v_add_f32_e32 v36, v36, v42
	v_mul_f32_e32 v42, 0xbe750f2a, v71
	global_inv scope:SCOPE_SE
	v_mul_f32_e32 v40, 0xbf7e222b, v38
	v_fma_f32 v70, 0xbf788fa5, v100, -v42
	s_delay_alu instid0(VALU_DEP_1) | instskip(NEXT) | instid1(VALU_DEP_1)
	v_dual_mul_f32 v102, 0xbf7e222b, v71 :: v_dual_add_f32 v57, v70, v57
	v_fma_f32 v37, 0x3df6dbef, v100, -v102
	v_fmac_f32_e32 v102, 0x3df6dbef, v100
	v_fmamk_f32 v44, v39, 0x3df6dbef, v40
	v_fma_f32 v40, 0x3df6dbef, v39, -v40
	s_delay_alu instid0(VALU_DEP_4) | instskip(NEXT) | instid1(VALU_DEP_2)
	v_add_f32_e32 v37, v37, v45
	v_dual_mul_f32 v45, 0xbe750f2a, v38 :: v_dual_add_f32 v40, v40, v43
	s_delay_alu instid0(VALU_DEP_1) | instskip(SKIP_1) | instid1(VALU_DEP_2)
	v_dual_fmamk_f32 v43, v39, 0xbf788fa5, v45 :: v_dual_add_f32 v44, v44, v47
	v_fma_f32 v45, 0xbf788fa5, v39, -v45
	v_add_f32_e32 v43, v43, v59
	v_mul_f32_e32 v59, 0x3f6f5d39, v38
	s_delay_alu instid0(VALU_DEP_1) | instskip(SKIP_1) | instid1(VALU_DEP_2)
	v_dual_add_f32 v45, v45, v56 :: v_dual_fmamk_f32 v56, v39, 0xbeb58ec6, v59
	v_fma_f32 v59, 0xbeb58ec6, v39, -v59
	v_dual_fmac_f32 v42, 0xbf788fa5, v100 :: v_dual_add_f32 v55, v56, v55
	s_delay_alu instid0(VALU_DEP_2) | instskip(SKIP_1) | instid1(VALU_DEP_2)
	v_dual_add_f32 v59, v59, v63 :: v_dual_mul_f32 v56, 0x3eedf032, v38
	v_add_f32_e32 v47, v102, v58
	v_dual_add_f32 v42, v42, v46 :: v_dual_fmamk_f32 v63, v39, 0x3f62ad3f, v56
	v_mul_f32_e32 v58, 0x3f6f5d39, v71
	v_fma_f32 v56, 0x3f62ad3f, v39, -v56
	s_delay_alu instid0(VALU_DEP_3) | instskip(NEXT) | instid1(VALU_DEP_3)
	v_add_f32_e32 v63, v63, v66
	v_fma_f32 v70, 0xbeb58ec6, v100, -v58
	v_fmac_f32_e32 v58, 0xbeb58ec6, v100
	s_delay_alu instid0(VALU_DEP_2) | instskip(NEXT) | instid1(VALU_DEP_2)
	v_dual_add_f32 v56, v56, v61 :: v_dual_add_f32 v67, v70, v67
	v_add_f32_e32 v58, v58, v62
	v_mul_f32_e32 v62, 0xbf52af12, v71
	v_mul_f32_e32 v66, 0xbf29c268, v71
	s_delay_alu instid0(VALU_DEP_2) | instskip(SKIP_1) | instid1(VALU_DEP_2)
	v_fma_f32 v102, 0x3f116cb1, v100, -v62
	v_mul_f32_e32 v46, 0x3eedf032, v71
	v_dual_fmac_f32 v62, 0x3f116cb1, v100 :: v_dual_add_f32 v61, v102, v69
	s_delay_alu instid0(VALU_DEP_2) | instskip(SKIP_1) | instid1(VALU_DEP_3)
	v_fma_f32 v70, 0x3f62ad3f, v100, -v46
	v_fmac_f32_e32 v46, 0x3f62ad3f, v100
	v_dual_add_f32 v62, v62, v65 :: v_dual_sub_f32 v65, v29, v35
	v_fma_f32 v69, 0xbf3f9e67, v100, -v66
	s_delay_alu instid0(VALU_DEP_4) | instskip(SKIP_1) | instid1(VALU_DEP_4)
	v_add_f32_e32 v54, v70, v54
	v_mul_f32_e32 v70, 0xbf52af12, v38
	v_dual_add_f32 v46, v46, v60 :: v_dual_mul_f32 v71, 0xbf6f5d39, v65
	v_dual_mul_f32 v38, 0xbf29c268, v38 :: v_dual_add_f32 v29, v35, v29
	s_delay_alu instid0(VALU_DEP_3) | instskip(SKIP_1) | instid1(VALU_DEP_2)
	v_fmamk_f32 v60, v39, 0x3f116cb1, v70
	v_fmac_f32_e32 v66, 0xbf3f9e67, v100
	v_add_f32_e32 v60, v60, v64
	v_fma_f32 v64, 0x3f116cb1, v39, -v70
	s_delay_alu instid0(VALU_DEP_1)
	v_add_f32_e32 v64, v64, v68
	v_dual_add_f32 v68, v69, v99 :: v_dual_add_f32 v69, v34, v28
	v_sub_f32_e32 v28, v28, v34
	v_fmamk_f32 v70, v39, 0xbf3f9e67, v38
	v_fma_f32 v34, 0xbf3f9e67, v39, -v38
	v_add_f32_e32 v39, v66, v41
	v_fma_f32 v38, 0xbeb58ec6, v69, -v71
	v_mul_f32_e32 v35, 0xbf6f5d39, v28
	v_mul_f32_e32 v41, 0x3f29c268, v28
	v_dual_add_f32 v34, v34, v36 :: v_dual_fmac_f32 v71, 0xbeb58ec6, v69
	s_delay_alu instid0(VALU_DEP_4) | instskip(NEXT) | instid1(VALU_DEP_4)
	v_add_f32_e32 v36, v38, v37
	v_fmamk_f32 v38, v29, 0xbeb58ec6, v35
	v_fma_f32 v35, 0xbeb58ec6, v29, -v35
	v_mul_f32_e32 v37, 0x3f29c268, v65
	s_delay_alu instid0(VALU_DEP_2) | instskip(SKIP_1) | instid1(VALU_DEP_3)
	v_dual_add_f32 v35, v35, v40 :: v_dual_fmamk_f32 v40, v29, 0xbf3f9e67, v41
	v_fma_f32 v41, 0xbf3f9e67, v29, -v41
	v_fma_f32 v66, 0xbf3f9e67, v69, -v37
	s_delay_alu instid0(VALU_DEP_3) | instskip(SKIP_1) | instid1(VALU_DEP_4)
	v_dual_fmac_f32 v37, 0xbf3f9e67, v69 :: v_dual_add_f32 v40, v40, v43
	v_dual_mul_f32 v43, 0x3eedf032, v28 :: v_dual_add_f32 v70, v70, v101
	v_add_f32_e32 v41, v41, v45
	s_delay_alu instid0(VALU_DEP_3) | instskip(SKIP_1) | instid1(VALU_DEP_4)
	v_add_f32_e32 v37, v37, v42
	v_add_f32_e32 v101, v2, v0
	v_fmamk_f32 v45, v29, 0x3f62ad3f, v43
	v_fma_f32 v43, 0x3f62ad3f, v29, -v43
	s_delay_alu instid0(VALU_DEP_2) | instskip(SKIP_1) | instid1(VALU_DEP_3)
	v_dual_mul_f32 v42, 0xbf7e222b, v65 :: v_dual_add_f32 v45, v45, v55
	v_mul_f32_e32 v55, 0xbf7e222b, v28
	v_add_f32_e32 v43, v43, v59
	s_delay_alu instid0(VALU_DEP_2) | instskip(SKIP_1) | instid1(VALU_DEP_2)
	v_fmamk_f32 v59, v29, 0x3df6dbef, v55
	v_fma_f32 v55, 0x3df6dbef, v29, -v55
	v_add_f32_e32 v59, v59, v63
	s_delay_alu instid0(VALU_DEP_2) | instskip(SKIP_3) | instid1(VALU_DEP_1)
	v_add_f32_e32 v55, v55, v56
	v_add_f32_e32 v38, v38, v44
	v_dual_add_f32 v44, v71, v47 :: v_dual_add_f32 v47, v66, v57
	v_mul_f32_e32 v57, 0x3eedf032, v65
	v_fma_f32 v66, 0x3f62ad3f, v69, -v57
	v_fmac_f32_e32 v57, 0x3f62ad3f, v69
	s_delay_alu instid0(VALU_DEP_1) | instskip(NEXT) | instid1(VALU_DEP_1)
	v_dual_add_f32 v57, v57, v58 :: v_dual_mul_f32 v58, 0x3e750f2a, v65
	v_fma_f32 v71, 0xbf788fa5, v69, -v58
	s_delay_alu instid0(VALU_DEP_1) | instskip(SKIP_4) | instid1(VALU_DEP_4)
	v_add_f32_e32 v56, v71, v61
	v_dual_mul_f32 v61, 0x3f52af12, v65 :: v_dual_add_f32 v66, v66, v67
	v_fma_f32 v67, 0x3df6dbef, v69, -v42
	v_sub_f32_e32 v71, v1, v3
	v_add_f32_e32 v3, v3, v1
	v_fma_f32 v63, 0x3f116cb1, v69, -v61
	s_delay_alu instid0(VALU_DEP_4) | instskip(SKIP_2) | instid1(VALU_DEP_4)
	v_dual_fmac_f32 v61, 0x3f116cb1, v69 :: v_dual_add_f32 v54, v67, v54
	v_mul_f32_e32 v67, 0x3e750f2a, v28
	v_mul_f32_e32 v28, 0x3f52af12, v28
	v_dual_fmac_f32 v58, 0xbf788fa5, v69 :: v_dual_add_f32 v63, v63, v68
	s_delay_alu instid0(VALU_DEP_1) | instskip(SKIP_2) | instid1(VALU_DEP_3)
	v_dual_fmamk_f32 v65, v29, 0x3f116cb1, v28 :: v_dual_add_f32 v58, v58, v62
	v_dual_sub_f32 v62, v31, v33 :: v_dual_add_f32 v31, v33, v31
	v_fma_f32 v28, 0x3f116cb1, v29, -v28
	v_dual_add_f32 v65, v65, v70 :: v_dual_fmac_f32 v42, 0x3df6dbef, v69
	s_delay_alu instid0(VALU_DEP_2) | instskip(NEXT) | instid1(VALU_DEP_4)
	v_dual_add_f32 v33, v61, v39 :: v_dual_add_f32 v28, v28, v34
	v_mul_f32_e32 v34, 0x3f7e222b, v62
	s_delay_alu instid0(VALU_DEP_3) | instskip(SKIP_1) | instid1(VALU_DEP_1)
	v_add_f32_e32 v42, v42, v46
	v_fmamk_f32 v46, v29, 0xbf788fa5, v67
	v_add_f32_e32 v46, v46, v60
	v_fma_f32 v60, 0xbf788fa5, v29, -v67
	s_delay_alu instid0(VALU_DEP_1) | instskip(SKIP_2) | instid1(VALU_DEP_2)
	v_dual_mul_f32 v67, 0xbf29c268, v62 :: v_dual_add_f32 v60, v60, v64
	v_add_f32_e32 v64, v32, v30
	v_sub_f32_e32 v30, v30, v32
	v_fma_f32 v29, 0xbf3f9e67, v64, -v67
	s_delay_alu instid0(VALU_DEP_2) | instskip(SKIP_3) | instid1(VALU_DEP_4)
	v_mul_f32_e32 v32, 0xbf29c268, v30
	v_mul_f32_e32 v39, 0x3f7e222b, v30
	v_fma_f32 v61, 0x3df6dbef, v64, -v34
	v_fmac_f32_e32 v34, 0x3df6dbef, v64
	v_dual_add_f32 v29, v29, v36 :: v_dual_fmamk_f32 v36, v31, 0xbf3f9e67, v32
	v_fma_f32 v32, 0xbf3f9e67, v31, -v32
	s_delay_alu instid0(VALU_DEP_3) | instskip(NEXT) | instid1(VALU_DEP_2)
	v_add_f32_e32 v34, v34, v37
	v_dual_add_f32 v32, v32, v35 :: v_dual_fmamk_f32 v35, v31, 0x3df6dbef, v39
	v_fma_f32 v39, 0x3df6dbef, v31, -v39
	s_delay_alu instid0(VALU_DEP_2) | instskip(NEXT) | instid1(VALU_DEP_2)
	v_dual_add_f32 v35, v35, v40 :: v_dual_mul_f32 v40, 0xbf52af12, v30
	v_dual_add_f32 v37, v39, v41 :: v_dual_sub_f32 v2, v0, v2
	s_delay_alu instid0(VALU_DEP_2) | instskip(SKIP_1) | instid1(VALU_DEP_3)
	v_fmamk_f32 v41, v31, 0x3f116cb1, v40
	v_fma_f32 v40, 0x3f116cb1, v31, -v40
	v_mul_f32_e32 v1, 0xbe750f2a, v2
	s_delay_alu instid0(VALU_DEP_3) | instskip(SKIP_1) | instid1(VALU_DEP_4)
	v_add_f32_e32 v41, v41, v45
	v_dual_fmac_f32 v67, 0xbf3f9e67, v64 :: v_dual_add_f32 v36, v36, v38
	v_add_f32_e32 v40, v40, v43
	s_delay_alu instid0(VALU_DEP_2) | instskip(SKIP_1) | instid1(VALU_DEP_1)
	v_add_f32_e32 v38, v67, v44
	v_dual_add_f32 v44, v61, v47 :: v_dual_mul_f32 v47, 0xbf52af12, v62
	v_fma_f32 v61, 0x3f116cb1, v64, -v47
	v_fmac_f32_e32 v47, 0x3f116cb1, v64
	v_mul_f32_e32 v39, 0x3e750f2a, v62
	v_mul_f32_e32 v45, 0x3e750f2a, v30
	s_delay_alu instid0(VALU_DEP_4) | instskip(NEXT) | instid1(VALU_DEP_4)
	v_add_f32_e32 v61, v61, v66
	v_add_f32_e32 v47, v47, v57
	s_delay_alu instid0(VALU_DEP_4) | instskip(NEXT) | instid1(VALU_DEP_4)
	v_fma_f32 v66, 0xbf788fa5, v64, -v39
	v_fmamk_f32 v57, v31, 0xbf788fa5, v45
	v_fma_f32 v45, 0xbf788fa5, v31, -v45
	v_fmac_f32_e32 v39, 0xbf788fa5, v64
	s_delay_alu instid0(VALU_DEP_4) | instskip(NEXT) | instid1(VALU_DEP_3)
	v_add_f32_e32 v43, v66, v54
	v_dual_mul_f32 v54, 0x3eedf032, v62 :: v_dual_add_f32 v45, v45, v55
	v_dual_mul_f32 v55, 0xbf6f5d39, v62 :: v_dual_add_f32 v68, v57, v59
	s_delay_alu instid0(VALU_DEP_4) | instskip(NEXT) | instid1(VALU_DEP_3)
	v_add_f32_e32 v39, v39, v42
	v_fma_f32 v67, 0x3f62ad3f, v64, -v54
	v_fmac_f32_e32 v54, 0x3f62ad3f, v64
	s_delay_alu instid0(VALU_DEP_2) | instskip(SKIP_4) | instid1(VALU_DEP_4)
	v_add_f32_e32 v69, v67, v56
	v_fma_f32 v56, 0xbeb58ec6, v64, -v55
	v_fmac_f32_e32 v55, 0xbeb58ec6, v64
	v_mul_f32_e32 v66, 0x3eedf032, v30
	v_mul_f32_e32 v30, 0xbf6f5d39, v30
	v_dual_add_f32 v70, v54, v58 :: v_dual_add_f32 v99, v56, v63
	v_mul_f32_e32 v56, 0xbe750f2a, v71
	s_delay_alu instid0(VALU_DEP_3) | instskip(NEXT) | instid1(VALU_DEP_1)
	v_fma_f32 v0, 0xbeb58ec6, v31, -v30
	v_add_f32_e32 v28, v0, v28
	v_fmamk_f32 v0, v3, 0xbf788fa5, v1
	v_fma_f32 v1, 0xbf788fa5, v3, -v1
	s_delay_alu instid0(VALU_DEP_1) | instskip(SKIP_1) | instid1(VALU_DEP_2)
	v_dual_add_f32 v1, v1, v32 :: v_dual_fmamk_f32 v54, v31, 0xbeb58ec6, v30
	v_fma_f32 v30, 0xbf788fa5, v101, -v56
	v_add_f32_e32 v100, v54, v65
	s_delay_alu instid0(VALU_DEP_2) | instskip(SKIP_1) | instid1(VALU_DEP_1)
	v_add_f32_e32 v54, v30, v29
	v_dual_mul_f32 v30, 0x3eedf032, v2 :: v_dual_mul_f32 v29, 0x3eedf032, v71
	v_fmamk_f32 v32, v3, 0x3f62ad3f, v30
	v_fma_f32 v30, 0x3f62ad3f, v3, -v30
	s_delay_alu instid0(VALU_DEP_2) | instskip(NEXT) | instid1(VALU_DEP_2)
	v_add_f32_e32 v59, v32, v35
	v_dual_add_f32 v57, v30, v37 :: v_dual_mul_f32 v32, 0xbf29c268, v2
	s_delay_alu instid0(VALU_DEP_1) | instskip(SKIP_1) | instid1(VALU_DEP_2)
	v_fmamk_f32 v30, v3, 0xbf3f9e67, v32
	v_fma_f32 v32, 0xbf3f9e67, v3, -v32
	v_dual_add_f32 v63, v30, v41 :: v_dual_fmamk_f32 v42, v31, 0x3f62ad3f, v66
	v_mul_f32_e32 v30, 0x3f52af12, v2
	s_delay_alu instid0(VALU_DEP_2)
	v_add_f32_e32 v42, v42, v46
	v_fma_f32 v46, 0x3f62ad3f, v31, -v66
	v_add_f32_e32 v31, v55, v33
	v_fma_f32 v33, 0x3f62ad3f, v101, -v29
	v_fmac_f32_e32 v29, 0x3f62ad3f, v101
	v_add_f32_e32 v55, v0, v36
	v_add_f32_e32 v46, v46, v60
	s_delay_alu instid0(VALU_DEP_4) | instskip(NEXT) | instid1(VALU_DEP_1)
	v_dual_add_f32 v58, v33, v44 :: v_dual_mul_f32 v33, 0xbf29c268, v71
	v_fma_f32 v35, 0xbf3f9e67, v101, -v33
	v_fmac_f32_e32 v33, 0xbf3f9e67, v101
	s_delay_alu instid0(VALU_DEP_2) | instskip(SKIP_1) | instid1(VALU_DEP_3)
	v_dual_add_f32 v62, v35, v61 :: v_dual_add_f32 v61, v32, v40
	v_mul_f32_e32 v32, 0xbf6f5d39, v71
	v_dual_add_f32 v60, v33, v47 :: v_dual_fmamk_f32 v33, v3, 0x3f116cb1, v30
	v_fmac_f32_e32 v56, 0xbf788fa5, v101
	v_fma_f32 v30, 0x3f116cb1, v3, -v30
	s_delay_alu instid0(VALU_DEP_4) | instskip(NEXT) | instid1(VALU_DEP_4)
	v_fma_f32 v35, 0xbeb58ec6, v101, -v32
	v_dual_fmac_f32 v32, 0xbeb58ec6, v101 :: v_dual_add_f32 v65, v33, v68
	s_delay_alu instid0(VALU_DEP_3) | instskip(NEXT) | instid1(VALU_DEP_3)
	v_dual_add_f32 v0, v56, v38 :: v_dual_add_f32 v67, v30, v45
	v_add_f32_e32 v68, v35, v69
	s_delay_alu instid0(VALU_DEP_3) | instskip(SKIP_3) | instid1(VALU_DEP_2)
	v_dual_add_f32 v35, v51, v7 :: v_dual_add_f32 v70, v32, v70
	v_sub_f32_e32 v32, v7, v51
	v_dual_add_f32 v56, v29, v34 :: v_dual_mul_f32 v29, 0x3f52af12, v71
	v_mul_f32_e32 v30, 0x3f7e222b, v71
	v_fma_f32 v34, 0x3f116cb1, v101, -v29
	v_fmac_f32_e32 v29, 0x3f116cb1, v101
	s_delay_alu instid0(VALU_DEP_3) | instskip(SKIP_1) | instid1(VALU_DEP_4)
	v_fma_f32 v33, 0x3df6dbef, v101, -v30
	v_fmac_f32_e32 v30, 0x3df6dbef, v101
	v_add_f32_e32 v64, v34, v43
	v_mul_f32_e32 v34, 0xbf6f5d39, v2
	s_delay_alu instid0(VALU_DEP_4) | instskip(SKIP_2) | instid1(VALU_DEP_4)
	v_dual_mul_f32 v2, 0x3f7e222b, v2 :: v_dual_add_f32 v99, v33, v99
	v_dual_mul_f32 v33, 0xbeedf032, v32 :: v_dual_add_f32 v66, v29, v39
	v_add_f32_e32 v101, v30, v31
	v_fmamk_f32 v29, v3, 0xbeb58ec6, v34
	s_delay_alu instid0(VALU_DEP_1) | instskip(SKIP_1) | instid1(VALU_DEP_1)
	v_add_f32_e32 v69, v29, v42
	v_fma_f32 v29, 0xbeb58ec6, v3, -v34
	v_dual_fmamk_f32 v34, v3, 0x3df6dbef, v2 :: v_dual_add_f32 v71, v29, v46
	s_delay_alu instid0(VALU_DEP_1) | instskip(SKIP_2) | instid1(VALU_DEP_2)
	v_add_f32_e32 v100, v34, v100
	v_sub_f32_e32 v34, v6, v50
	v_add_f32_e32 v29, v50, v6
	v_mul_f32_e32 v31, 0xbf52af12, v34
	v_mul_f32_e32 v36, 0xbeedf032, v34
	s_delay_alu instid0(VALU_DEP_2) | instskip(SKIP_1) | instid1(VALU_DEP_3)
	v_fmamk_f32 v37, v35, 0x3f116cb1, v31
	v_fma_f32 v31, 0x3f116cb1, v35, -v31
	v_fma_f32 v30, 0x3f62ad3f, v35, -v36
	s_delay_alu instid0(VALU_DEP_3) | instskip(NEXT) | instid1(VALU_DEP_3)
	v_add_f32_e32 v37, v37, v5
	v_add_f32_e32 v31, v31, v5
	v_fma_f32 v2, 0x3df6dbef, v3, -v2
	v_fma_f32 v3, 0x3f62ad3f, v29, -v33
	v_dual_fmac_f32 v33, 0x3f62ad3f, v29 :: v_dual_add_f32 v108, v26, v20
	v_sub_f32_e32 v110, v20, v26
	s_delay_alu instid0(VALU_DEP_4) | instskip(NEXT) | instid1(VALU_DEP_4)
	v_add_f32_e32 v102, v2, v28
	v_add_f32_e32 v2, v3, v4
	v_mul_f32_e32 v3, 0xbf52af12, v32
	v_dual_fmamk_f32 v28, v35, 0x3f62ad3f, v36 :: v_dual_add_f32 v33, v33, v4
	v_dual_sub_f32 v106, v21, v27 :: v_dual_mul_f32 v111, 0xbf52af12, v110
	s_delay_alu instid0(VALU_DEP_3)
	v_fma_f32 v36, 0x3f116cb1, v29, -v3
	v_fmac_f32_e32 v3, 0x3f116cb1, v29
	v_mul_f32_e32 v41, 0xbf6f5d39, v32
	v_dual_mul_f32 v47, 0xbf29c268, v34 :: v_dual_add_f32 v30, v30, v5
	v_mul_f32_e32 v45, 0xbf29c268, v32
	v_dual_mul_f32 v39, 0xbf7e222b, v34 :: v_dual_add_f32 v36, v36, v4
	s_delay_alu instid0(VALU_DEP_3)
	v_fmamk_f32 v104, v35, 0xbf3f9e67, v47
	v_fma_f32 v47, 0xbf3f9e67, v35, -v47
	v_mul_f32_e32 v38, 0xbf7e222b, v32
	v_mul_f32_e32 v32, 0xbe750f2a, v32
	;; [unrolled: 1-line block ×3, first 2 shown]
	v_fma_f32 v103, 0xbf3f9e67, v29, -v45
	v_add_f32_e32 v47, v47, v5
	v_fma_f32 v40, 0x3df6dbef, v29, -v38
	v_fmac_f32_e32 v45, 0xbf3f9e67, v29
	v_mul_f32_e32 v34, 0xbe750f2a, v34
	v_fma_f32 v105, 0xbf788fa5, v29, -v32
	v_fmamk_f32 v42, v35, 0x3df6dbef, v39
	v_dual_add_f32 v40, v40, v4 :: v_dual_mul_f32 v109, 0xbf52af12, v106
	v_fma_f32 v39, 0x3df6dbef, v35, -v39
	v_dual_add_f32 v3, v3, v4 :: v_dual_fmac_f32 v38, 0x3df6dbef, v29
	v_fma_f32 v43, 0xbeb58ec6, v29, -v41
	v_fmac_f32_e32 v41, 0xbeb58ec6, v29
	s_delay_alu instid0(VALU_DEP_4)
	v_add_f32_e32 v39, v39, v5
	v_dual_add_f32 v45, v45, v4 :: v_dual_add_f32 v28, v28, v5
	v_fmamk_f32 v107, v35, 0xbf788fa5, v34
	v_fmac_f32_e32 v32, 0xbf788fa5, v29
	v_fma_f32 v29, 0xbf788fa5, v35, -v34
	v_fma_f32 v34, 0x3f116cb1, v108, -v109
	v_add_f32_e32 v103, v103, v4
	v_dual_add_f32 v105, v105, v4 :: v_dual_add_f32 v42, v42, v5
	s_delay_alu instid0(VALU_DEP_3) | instskip(SKIP_4) | instid1(VALU_DEP_4)
	v_dual_add_f32 v107, v107, v5 :: v_dual_add_f32 v2, v34, v2
	v_mul_f32_e32 v34, 0xbf6f5d39, v106
	v_dual_fmamk_f32 v46, v35, 0xbeb58ec6, v44 :: v_dual_add_f32 v29, v29, v5
	v_fma_f32 v44, 0xbeb58ec6, v35, -v44
	v_add_f32_e32 v35, v27, v21
	v_fma_f32 v120, 0xbeb58ec6, v108, -v34
	v_fmac_f32_e32 v34, 0xbeb58ec6, v108
	s_delay_alu instid0(VALU_DEP_4) | instskip(NEXT) | instid1(VALU_DEP_4)
	v_dual_mul_f32 v119, 0xbf6f5d39, v110 :: v_dual_add_f32 v44, v44, v5
	v_fmamk_f32 v112, v35, 0x3f116cb1, v111
	v_fma_f32 v111, 0x3f116cb1, v35, -v111
	s_delay_alu instid0(VALU_DEP_4)
	v_add_f32_e32 v3, v34, v3
	v_add_f32_e32 v38, v38, v4
	;; [unrolled: 1-line block ×4, first 2 shown]
	v_fma_f32 v112, 0xbeb58ec6, v35, -v119
	v_add_f32_e32 v41, v41, v4
	s_delay_alu instid0(VALU_DEP_2) | instskip(SKIP_1) | instid1(VALU_DEP_1)
	v_dual_add_f32 v31, v112, v31 :: v_dual_add_f32 v46, v46, v5
	v_fmac_f32_e32 v109, 0x3f116cb1, v108
	v_add_f32_e32 v33, v109, v33
	v_dual_add_f32 v104, v104, v5 :: v_dual_fmamk_f32 v109, v35, 0xbeb58ec6, v119
	s_delay_alu instid0(VALU_DEP_1) | instskip(SKIP_2) | instid1(VALU_DEP_2)
	v_add_f32_e32 v37, v109, v37
	v_mul_f32_e32 v109, 0xbe750f2a, v110
	v_mul_f32_e32 v34, 0x3f29c268, v106
	v_fmamk_f32 v112, v35, 0xbf788fa5, v109
	v_fma_f32 v109, 0xbf788fa5, v35, -v109
	s_delay_alu instid0(VALU_DEP_1) | instskip(SKIP_4) | instid1(VALU_DEP_2)
	v_add_f32_e32 v39, v109, v39
	v_mul_f32_e32 v109, 0x3f7e222b, v106
	v_add_f32_e32 v30, v111, v30
	v_mul_f32_e32 v111, 0xbe750f2a, v106
	v_mul_f32_e32 v106, 0x3eedf032, v106
	v_fma_f32 v119, 0xbf788fa5, v108, -v111
	v_fmac_f32_e32 v111, 0xbf788fa5, v108
	v_add_f32_e32 v36, v120, v36
	v_fma_f32 v120, 0x3df6dbef, v108, -v109
	s_delay_alu instid0(VALU_DEP_3) | instskip(NEXT) | instid1(VALU_DEP_2)
	v_dual_fmac_f32 v109, 0x3df6dbef, v108 :: v_dual_add_f32 v38, v111, v38
	v_add_f32_e32 v103, v120, v103
	s_delay_alu instid0(VALU_DEP_2) | instskip(SKIP_4) | instid1(VALU_DEP_2)
	v_add_f32_e32 v45, v109, v45
	v_sub_f32_e32 v109, v23, v25
	v_add_f32_e32 v40, v119, v40
	v_fma_f32 v119, 0xbf3f9e67, v108, -v34
	v_add_f32_e32 v32, v32, v4
	v_dual_fmac_f32 v34, 0xbf3f9e67, v108 :: v_dual_add_f32 v43, v119, v43
	v_mul_f32_e32 v119, 0x3f7e222b, v110
	v_add_f32_e32 v42, v112, v42
	v_mul_f32_e32 v112, 0x3f29c268, v110
	s_delay_alu instid0(VALU_DEP_1) | instskip(NEXT) | instid1(VALU_DEP_1)
	v_fmamk_f32 v111, v35, 0xbf3f9e67, v112
	v_add_f32_e32 v46, v111, v46
	v_fma_f32 v111, 0x3f62ad3f, v108, -v106
	s_delay_alu instid0(VALU_DEP_1) | instskip(SKIP_3) | instid1(VALU_DEP_2)
	v_add_f32_e32 v105, v111, v105
	v_mul_f32_e32 v111, 0xbf7e222b, v109
	v_dual_add_f32 v34, v34, v41 :: v_dual_fmamk_f32 v41, v35, 0x3df6dbef, v119
	v_fma_f32 v112, 0xbf3f9e67, v35, -v112
	v_dual_add_f32 v41, v41, v104 :: v_dual_mul_f32 v104, 0x3eedf032, v110
	s_delay_alu instid0(VALU_DEP_2) | instskip(SKIP_1) | instid1(VALU_DEP_3)
	v_add_f32_e32 v44, v112, v44
	v_fma_f32 v110, 0x3df6dbef, v35, -v119
	v_fmamk_f32 v112, v35, 0x3f62ad3f, v104
	v_fma_f32 v35, 0x3f62ad3f, v35, -v104
	s_delay_alu instid0(VALU_DEP_3) | instskip(NEXT) | instid1(VALU_DEP_3)
	v_add_f32_e32 v47, v110, v47
	v_add_f32_e32 v107, v112, v107
	s_delay_alu instid0(VALU_DEP_3) | instskip(SKIP_1) | instid1(VALU_DEP_1)
	v_add_f32_e32 v29, v35, v29
	v_dual_mul_f32 v35, 0xbe750f2a, v109 :: v_dual_sub_f32 v112, v22, v24
	v_dual_add_f32 v110, v24, v22 :: v_dual_mul_f32 v119, 0xbf7e222b, v112
	s_delay_alu instid0(VALU_DEP_1) | instskip(SKIP_1) | instid1(VALU_DEP_1)
	v_fma_f32 v104, 0x3df6dbef, v110, -v111
	v_fmac_f32_e32 v111, 0x3df6dbef, v110
	v_dual_add_f32 v2, v104, v2 :: v_dual_add_f32 v33, v111, v33
	v_fmac_f32_e32 v106, 0x3f62ad3f, v108
	v_add_f32_e32 v108, v25, v23
	s_delay_alu instid0(VALU_DEP_2) | instskip(NEXT) | instid1(VALU_DEP_2)
	v_add_f32_e32 v32, v106, v32
	v_fmamk_f32 v104, v108, 0x3df6dbef, v119
	v_fma_f32 v106, 0x3df6dbef, v108, -v119
	v_mul_f32_e32 v119, 0xbe750f2a, v112
	v_fma_f32 v120, 0xbf788fa5, v110, -v35
	v_fmac_f32_e32 v35, 0xbf788fa5, v110
	s_delay_alu instid0(VALU_DEP_1) | instskip(SKIP_3) | instid1(VALU_DEP_2)
	v_add_f32_e32 v3, v35, v3
	v_dual_mul_f32 v35, 0x3eedf032, v109 :: v_dual_add_f32 v28, v104, v28
	v_fmamk_f32 v104, v108, 0xbf788fa5, v119
	v_fma_f32 v111, 0xbf788fa5, v108, -v119
	v_dual_add_f32 v37, v104, v37 :: v_dual_mul_f32 v104, 0x3f6f5d39, v112
	s_delay_alu instid0(VALU_DEP_2) | instskip(NEXT) | instid1(VALU_DEP_2)
	v_add_f32_e32 v31, v111, v31
	v_fmamk_f32 v111, v108, 0xbeb58ec6, v104
	v_fma_f32 v104, 0xbeb58ec6, v108, -v104
	v_add_f32_e32 v30, v106, v30
	v_mul_f32_e32 v106, 0x3f6f5d39, v109
	s_delay_alu instid0(VALU_DEP_4) | instskip(NEXT) | instid1(VALU_DEP_4)
	v_dual_add_f32 v42, v111, v42 :: v_dual_mul_f32 v111, 0x3eedf032, v112
	v_add_f32_e32 v39, v104, v39
	s_delay_alu instid0(VALU_DEP_3) | instskip(SKIP_2) | instid1(VALU_DEP_3)
	v_fma_f32 v119, 0xbeb58ec6, v110, -v106
	v_fmac_f32_e32 v106, 0xbeb58ec6, v110
	v_mul_f32_e32 v104, 0xbf52af12, v109
	v_add_f32_e32 v40, v119, v40
	v_fma_f32 v119, 0x3f62ad3f, v110, -v35
	v_fmac_f32_e32 v35, 0x3f62ad3f, v110
	s_delay_alu instid0(VALU_DEP_2) | instskip(NEXT) | instid1(VALU_DEP_2)
	v_dual_add_f32 v38, v106, v38 :: v_dual_add_f32 v43, v119, v43
	v_dual_mul_f32 v119, 0xbf52af12, v112 :: v_dual_add_f32 v34, v35, v34
	s_delay_alu instid0(VALU_DEP_1) | instskip(NEXT) | instid1(VALU_DEP_1)
	v_fmamk_f32 v35, v108, 0x3f116cb1, v119
	v_add_f32_e32 v35, v35, v41
	v_mul_f32_e32 v41, 0xbf29c268, v112
	s_delay_alu instid0(VALU_DEP_1) | instskip(SKIP_3) | instid1(VALU_DEP_4)
	v_fmamk_f32 v112, v108, 0xbf3f9e67, v41
	v_fma_f32 v41, 0xbf3f9e67, v108, -v41
	v_fmamk_f32 v106, v108, 0x3f62ad3f, v111
	v_fma_f32 v111, 0x3f62ad3f, v108, -v111
	v_add_f32_e32 v107, v112, v107
	s_delay_alu instid0(VALU_DEP_3) | instskip(SKIP_3) | instid1(VALU_DEP_2)
	v_dual_add_f32 v29, v41, v29 :: v_dual_add_f32 v46, v106, v46
	v_mul_f32_e32 v106, 0xbf29c268, v109
	v_fma_f32 v109, 0x3f116cb1, v108, -v119
	v_add_f32_e32 v36, v120, v36
	v_dual_sub_f32 v112, v16, v14 :: v_dual_add_f32 v47, v109, v47
	v_add_f32_e32 v109, v14, v16
	v_fma_f32 v120, 0x3f116cb1, v110, -v104
	v_fmac_f32_e32 v104, 0x3f116cb1, v110
	s_delay_alu instid0(VALU_DEP_4) | instskip(NEXT) | instid1(VALU_DEP_3)
	v_mul_f32_e32 v119, 0xbf6f5d39, v112
	v_dual_add_f32 v44, v111, v44 :: v_dual_add_f32 v103, v120, v103
	s_delay_alu instid0(VALU_DEP_3) | instskip(NEXT) | instid1(VALU_DEP_1)
	v_dual_add_f32 v45, v104, v45 :: v_dual_sub_f32 v104, v17, v15
	v_mul_f32_e32 v41, 0x3f29c268, v104
	s_delay_alu instid0(VALU_DEP_1) | instskip(NEXT) | instid1(VALU_DEP_1)
	v_fma_f32 v120, 0xbf3f9e67, v109, -v41
	v_dual_fmac_f32 v41, 0xbf3f9e67, v109 :: v_dual_add_f32 v36, v120, v36
	s_delay_alu instid0(VALU_DEP_1) | instskip(SKIP_3) | instid1(VALU_DEP_3)
	v_add_f32_e32 v3, v41, v3
	v_fma_f32 v111, 0xbf3f9e67, v110, -v106
	v_fmac_f32_e32 v106, 0xbf3f9e67, v110
	v_dual_add_f32 v110, v15, v17 :: v_dual_mul_f32 v41, 0xbf7e222b, v104
	v_add_f32_e32 v105, v111, v105
	v_mul_f32_e32 v111, 0xbf6f5d39, v104
	s_delay_alu instid0(VALU_DEP_4) | instskip(NEXT) | instid1(VALU_DEP_4)
	v_add_f32_e32 v32, v106, v32
	v_fmamk_f32 v106, v110, 0xbeb58ec6, v119
	s_delay_alu instid0(VALU_DEP_3) | instskip(NEXT) | instid1(VALU_DEP_2)
	v_fma_f32 v108, 0xbeb58ec6, v109, -v111
	v_dual_fmac_f32 v111, 0xbeb58ec6, v109 :: v_dual_add_f32 v28, v106, v28
	s_delay_alu instid0(VALU_DEP_2) | instskip(SKIP_2) | instid1(VALU_DEP_1)
	v_add_f32_e32 v2, v108, v2
	v_fma_f32 v108, 0xbeb58ec6, v110, -v119
	v_mul_f32_e32 v119, 0x3f29c268, v112
	v_dual_add_f32 v33, v111, v33 :: v_dual_fmamk_f32 v106, v110, 0xbf3f9e67, v119
	v_fma_f32 v111, 0xbf3f9e67, v110, -v119
	s_delay_alu instid0(VALU_DEP_2) | instskip(NEXT) | instid1(VALU_DEP_2)
	v_dual_add_f32 v37, v106, v37 :: v_dual_mul_f32 v106, 0x3eedf032, v112
	v_dual_add_f32 v30, v108, v30 :: v_dual_add_f32 v31, v111, v31
	s_delay_alu instid0(VALU_DEP_2) | instskip(SKIP_2) | instid1(VALU_DEP_3)
	v_fmamk_f32 v111, v110, 0x3f62ad3f, v106
	v_fma_f32 v106, 0x3f62ad3f, v110, -v106
	v_mul_f32_e32 v108, 0x3eedf032, v104
	v_dual_add_f32 v42, v111, v42 :: v_dual_mul_f32 v111, 0xbf7e222b, v112
	s_delay_alu instid0(VALU_DEP_3) | instskip(NEXT) | instid1(VALU_DEP_3)
	v_add_f32_e32 v39, v106, v39
	v_fma_f32 v119, 0x3f62ad3f, v109, -v108
	v_mul_f32_e32 v106, 0x3e750f2a, v104
	v_mul_f32_e32 v104, 0x3f52af12, v104
	s_delay_alu instid0(VALU_DEP_3) | instskip(SKIP_3) | instid1(VALU_DEP_3)
	v_add_f32_e32 v40, v119, v40
	v_fma_f32 v119, 0x3df6dbef, v109, -v41
	v_fmac_f32_e32 v41, 0x3df6dbef, v109
	v_fma_f32 v120, 0xbf788fa5, v109, -v106
	v_dual_fmac_f32 v106, 0xbf788fa5, v109 :: v_dual_add_f32 v43, v119, v43
	s_delay_alu instid0(VALU_DEP_3) | instskip(NEXT) | instid1(VALU_DEP_2)
	v_dual_mul_f32 v119, 0x3e750f2a, v112 :: v_dual_add_f32 v34, v41, v34
	v_add_f32_e32 v45, v106, v45
	s_delay_alu instid0(VALU_DEP_4) | instskip(NEXT) | instid1(VALU_DEP_3)
	v_add_f32_e32 v103, v120, v103
	v_fmamk_f32 v41, v110, 0xbf788fa5, v119
	s_delay_alu instid0(VALU_DEP_1) | instskip(SKIP_1) | instid1(VALU_DEP_1)
	v_add_f32_e32 v35, v41, v35
	v_mul_f32_e32 v41, 0x3f52af12, v112
	v_fmamk_f32 v112, v110, 0x3f116cb1, v41
	v_fmac_f32_e32 v108, 0x3f62ad3f, v109
	v_fma_f32 v41, 0x3f116cb1, v110, -v41
	s_delay_alu instid0(VALU_DEP_3) | instskip(NEXT) | instid1(VALU_DEP_3)
	v_add_f32_e32 v107, v112, v107
	v_add_f32_e32 v38, v108, v38
	s_delay_alu instid0(VALU_DEP_3) | instskip(SKIP_3) | instid1(VALU_DEP_4)
	v_dual_fmamk_f32 v108, v110, 0x3df6dbef, v111 :: v_dual_add_f32 v29, v41, v29
	v_fma_f32 v111, 0x3df6dbef, v110, -v111
	v_sub_f32_e32 v112, v18, v12
	v_sub_f32_e32 v106, v19, v13
	v_add_f32_e32 v46, v108, v46
	v_fma_f32 v108, 0xbf788fa5, v110, -v119
	s_delay_alu instid0(VALU_DEP_4) | instskip(SKIP_2) | instid1(VALU_DEP_4)
	v_mul_f32_e32 v119, 0xbf29c268, v112
	v_add_f32_e32 v44, v111, v44
	v_fma_f32 v111, 0x3f116cb1, v109, -v104
	v_add_f32_e32 v47, v108, v47
	v_mul_f32_e32 v41, 0x3f7e222b, v106
	v_add_f32_e32 v108, v12, v18
	v_fmac_f32_e32 v104, 0x3f116cb1, v109
	v_add_f32_e32 v105, v111, v105
	v_dual_mul_f32 v111, 0xbf29c268, v106 :: v_dual_add_f32 v110, v13, v19
	s_delay_alu instid0(VALU_DEP_3) | instskip(NEXT) | instid1(VALU_DEP_2)
	v_add_f32_e32 v32, v104, v32
	v_fma_f32 v109, 0xbf3f9e67, v108, -v111
	s_delay_alu instid0(VALU_DEP_3) | instskip(NEXT) | instid1(VALU_DEP_2)
	v_fmamk_f32 v104, v110, 0xbf3f9e67, v119
	v_add_f32_e32 v2, v109, v2
	v_fma_f32 v109, 0xbf3f9e67, v110, -v119
	v_mul_f32_e32 v119, 0x3f7e222b, v112
	v_fmac_f32_e32 v111, 0xbf3f9e67, v108
	v_add_f32_e32 v28, v104, v28
	v_fma_f32 v120, 0x3df6dbef, v108, -v41
	v_fmac_f32_e32 v41, 0x3df6dbef, v108
	s_delay_alu instid0(VALU_DEP_4) | instskip(SKIP_1) | instid1(VALU_DEP_3)
	v_dual_fmamk_f32 v104, v110, 0x3df6dbef, v119 :: v_dual_add_f32 v33, v111, v33
	v_fma_f32 v111, 0x3df6dbef, v110, -v119
	v_add_f32_e32 v41, v41, v3
	s_delay_alu instid0(VALU_DEP_3)
	v_dual_add_f32 v37, v104, v37 :: v_dual_mul_f32 v104, 0xbf52af12, v112
	v_add_f32_e32 v30, v109, v30
	v_mul_f32_e32 v109, 0xbf52af12, v106
	v_add_f32_e32 v31, v111, v31
	v_mul_f32_e32 v3, 0x3e750f2a, v106
	v_fmamk_f32 v111, v110, 0x3f116cb1, v104
	v_fma_f32 v104, 0x3f116cb1, v110, -v104
	v_fma_f32 v119, 0x3f116cb1, v108, -v109
	s_delay_alu instid0(VALU_DEP_3) | instskip(SKIP_1) | instid1(VALU_DEP_3)
	v_dual_fmac_f32 v109, 0x3f116cb1, v108 :: v_dual_add_f32 v42, v111, v42
	v_mul_f32_e32 v111, 0x3e750f2a, v112
	v_dual_add_f32 v40, v119, v40 :: v_dual_add_f32 v39, v104, v39
	v_fma_f32 v119, 0xbf788fa5, v108, -v3
	s_delay_alu instid0(VALU_DEP_4) | instskip(NEXT) | instid1(VALU_DEP_4)
	v_add_f32_e32 v38, v109, v38
	v_dual_add_f32 v36, v120, v36 :: v_dual_fmamk_f32 v109, v110, 0xbf788fa5, v111
	s_delay_alu instid0(VALU_DEP_3) | instskip(SKIP_1) | instid1(VALU_DEP_3)
	v_dual_mul_f32 v104, 0x3eedf032, v106 :: v_dual_add_f32 v43, v119, v43
	v_mul_f32_e32 v119, 0x3eedf032, v112
	v_dual_fmac_f32 v3, 0xbf788fa5, v108 :: v_dual_add_f32 v46, v109, v46
	v_fma_f32 v111, 0xbf788fa5, v110, -v111
	s_delay_alu instid0(VALU_DEP_4) | instskip(NEXT) | instid1(VALU_DEP_3)
	v_fma_f32 v120, 0x3f62ad3f, v108, -v104
	v_add_f32_e32 v109, v3, v34
	s_delay_alu instid0(VALU_DEP_3) | instskip(NEXT) | instid1(VALU_DEP_3)
	v_dual_fmamk_f32 v3, v110, 0x3f62ad3f, v119 :: v_dual_add_f32 v44, v111, v44
	v_dual_mul_f32 v34, 0xbf6f5d39, v106 :: v_dual_add_f32 v103, v120, v103
	v_sub_f32_e32 v120, v8, v10
	s_delay_alu instid0(VALU_DEP_3)
	v_add_f32_e32 v106, v3, v35
	v_fma_f32 v35, 0x3f62ad3f, v110, -v119
	v_fmac_f32_e32 v104, 0x3f62ad3f, v108
	v_mul_f32_e32 v3, 0xbf6f5d39, v112
	v_fma_f32 v111, 0xbeb58ec6, v108, -v34
	v_add_f32_e32 v119, v10, v8
	v_add_f32_e32 v47, v35, v47
	v_dual_add_f32 v45, v104, v45 :: v_dual_sub_f32 v104, v9, v11
	s_delay_alu instid0(VALU_DEP_4) | instskip(SKIP_1) | instid1(VALU_DEP_3)
	v_dual_add_f32 v105, v111, v105 :: v_dual_fmamk_f32 v112, v110, 0xbeb58ec6, v3
	v_fma_f32 v3, 0xbeb58ec6, v110, -v3
	v_dual_add_f32 v110, v11, v9 :: v_dual_mul_f32 v35, 0xbe750f2a, v104
	v_mul_f32_e32 v111, 0xbe750f2a, v120
	v_fmac_f32_e32 v34, 0xbeb58ec6, v108
	s_delay_alu instid0(VALU_DEP_4) | instskip(NEXT) | instid1(VALU_DEP_4)
	v_add_f32_e32 v122, v3, v29
	v_fma_f32 v108, 0xbf788fa5, v119, -v35
	s_delay_alu instid0(VALU_DEP_4) | instskip(NEXT) | instid1(VALU_DEP_4)
	v_fmamk_f32 v3, v110, 0xbf788fa5, v111
	v_add_f32_e32 v121, v34, v32
	v_fma_f32 v32, 0xbf788fa5, v110, -v111
	s_delay_alu instid0(VALU_DEP_4) | instskip(NEXT) | instid1(VALU_DEP_4)
	v_dual_mul_f32 v29, 0x3eedf032, v104 :: v_dual_add_f32 v2, v108, v2
	v_add_f32_e32 v3, v3, v28
	v_add_f32_e32 v107, v112, v107
	s_delay_alu instid0(VALU_DEP_4) | instskip(NEXT) | instid1(VALU_DEP_4)
	v_add_f32_e32 v112, v32, v30
	v_fma_f32 v108, 0x3f62ad3f, v119, -v29
	v_fmac_f32_e32 v29, 0x3f62ad3f, v119
	s_delay_alu instid0(VALU_DEP_2) | instskip(NEXT) | instid1(VALU_DEP_2)
	v_dual_fmac_f32 v35, 0xbf788fa5, v119 :: v_dual_add_f32 v32, v108, v36
	v_add_f32_e32 v30, v29, v41
	s_delay_alu instid0(VALU_DEP_2) | instskip(NEXT) | instid1(VALU_DEP_1)
	v_dual_mul_f32 v34, 0x3eedf032, v120 :: v_dual_add_f32 v111, v35, v33
	v_fmamk_f32 v28, v110, 0x3f62ad3f, v34
	v_mul_f32_e32 v36, 0xbf29c268, v104
	v_fma_f32 v34, 0x3f62ad3f, v110, -v34
	s_delay_alu instid0(VALU_DEP_3) | instskip(NEXT) | instid1(VALU_DEP_2)
	v_dual_add_f32 v33, v28, v37 :: v_dual_mul_f32 v28, 0xbf29c268, v120
	v_add_f32_e32 v31, v34, v31
	s_delay_alu instid0(VALU_DEP_4)
	v_fma_f32 v35, 0xbf3f9e67, v119, -v36
	v_fmac_f32_e32 v36, 0xbf3f9e67, v119
	v_mul_f32_e32 v41, 0x3f52af12, v104
	v_fmamk_f32 v29, v110, 0xbf3f9e67, v28
	v_fma_f32 v37, 0xbf3f9e67, v110, -v28
	v_add_f32_e32 v34, v35, v40
	v_add_f32_e32 v28, v36, v38
	v_fma_f32 v40, 0x3f116cb1, v119, -v41
	v_fmac_f32_e32 v41, 0x3f116cb1, v119
	s_delay_alu instid0(VALU_DEP_2) | instskip(SKIP_2) | instid1(VALU_DEP_2)
	v_dual_add_f32 v36, v40, v43 :: v_dual_add_f32 v35, v29, v42
	v_dual_mul_f32 v42, 0x3f52af12, v120 :: v_dual_add_f32 v29, v37, v39
	v_mul_f32_e32 v39, 0xbf6f5d39, v120
	v_fmamk_f32 v37, v110, 0x3f116cb1, v42
	v_fma_f32 v38, 0x3f116cb1, v110, -v42
	s_delay_alu instid0(VALU_DEP_3) | instskip(NEXT) | instid1(VALU_DEP_3)
	v_dual_add_f32 v42, v41, v109 :: v_dual_fmamk_f32 v41, v110, 0xbeb58ec6, v39
	v_dual_mul_f32 v40, 0xbf6f5d39, v104 :: v_dual_add_f32 v37, v37, v46
	v_mul_f32_e32 v46, 0x3f7e222b, v104
	s_delay_alu instid0(VALU_DEP_4) | instskip(SKIP_4) | instid1(VALU_DEP_4)
	v_add_f32_e32 v43, v38, v44
	v_fma_f32 v44, 0xbeb58ec6, v110, -v39
	v_add_f32_e32 v39, v41, v106
	v_fma_f32 v108, 0xbeb58ec6, v119, -v40
	v_fmac_f32_e32 v40, 0xbeb58ec6, v119
	v_add_f32_e32 v41, v44, v47
	v_mul_lo_u16 v44, v117, 13
	s_delay_alu instid0(VALU_DEP_4) | instskip(NEXT) | instid1(VALU_DEP_4)
	v_add_f32_e32 v38, v108, v103
	v_add_f32_e32 v40, v40, v45
	v_fma_f32 v45, 0x3df6dbef, v119, -v46
	v_fmac_f32_e32 v46, 0x3df6dbef, v119
	v_mul_f32_e32 v103, 0x3f7e222b, v120
	v_and_b32_e32 v104, 0xffff, v44
	s_delay_alu instid0(VALU_DEP_2) | instskip(SKIP_1) | instid1(VALU_DEP_2)
	v_dual_add_f32 v44, v45, v105 :: v_dual_fmamk_f32 v47, v110, 0x3df6dbef, v103
	v_fma_f32 v103, 0x3df6dbef, v110, -v103
	v_dual_add_f32 v46, v46, v121 :: v_dual_add_f32 v45, v47, v107
	s_delay_alu instid0(VALU_DEP_2)
	v_add_f32_e32 v47, v103, v122
	v_lshl_add_u32 v124, v104, 3, v115
	ds_store_2addr_b64 v124, v[52:53], v[54:55] offset1:1
	ds_store_2addr_b64 v124, v[58:59], v[62:63] offset0:2 offset1:3
	ds_store_2addr_b64 v124, v[64:65], v[68:69] offset0:4 offset1:5
	;; [unrolled: 1-line block ×5, first 2 shown]
	ds_store_b64 v124, v[0:1] offset:96
	s_and_saveexec_b32 s8, vcc_lo
	s_cbranch_execz .LBB0_7
; %bb.6:
	v_dual_add_f32 v0, v7, v5 :: v_dual_add_f32 v1, v6, v4
	s_delay_alu instid0(VALU_DEP_1) | instskip(NEXT) | instid1(VALU_DEP_1)
	v_dual_add_f32 v0, v21, v0 :: v_dual_add_f32 v1, v20, v1
	v_dual_add_f32 v0, v23, v0 :: v_dual_add_f32 v1, v22, v1
	s_delay_alu instid0(VALU_DEP_1) | instskip(NEXT) | instid1(VALU_DEP_1)
	v_dual_add_f32 v0, v17, v0 :: v_dual_add_f32 v1, v16, v1
	;; [unrolled: 3-line block ×5, first 2 shown]
	v_add_f32_e32 v0, v27, v0
	s_delay_alu instid0(VALU_DEP_1) | instskip(NEXT) | instid1(VALU_DEP_1)
	v_dual_add_f32 v4, v26, v1 :: v_dual_add_f32 v1, v51, v0
	v_add_f32_e32 v0, v50, v4
	ds_store_2addr_b64 v115, v[36:37], v[38:39] offset0:173 offset1:174
	ds_store_2addr_b64 v115, v[44:45], v[46:47] offset0:175 offset1:176
	;; [unrolled: 1-line block ×6, first 2 shown]
	ds_store_b64 v115, v[111:112] offset:1448
.LBB0_7:
	s_wait_alu 0xfffe
	s_or_b32 exec_lo, exec_lo, s8
	v_add_nc_u16 v0, v117, 26
	v_lshlrev_b32_e32 v50, 3, v117
	global_wb scope:SCOPE_SE
	s_wait_dscnt 0x0
	s_barrier_signal -1
	s_barrier_wait -1
	global_inv scope:SCOPE_SE
	global_load_b64 v[101:102], v50, s[0:1]
	v_and_b32_e32 v1, 0xff, v0
	v_add_nc_u16 v4, v117, 39
	v_add_nc_u16 v5, v117, 52
	;; [unrolled: 1-line block ×4, first 2 shown]
	v_mul_lo_u16 v1, 0x4f, v1
	v_lshl_add_u32 v125, v114, 3, v113
	v_and_b32_e32 v9, 0xff, v5
	s_delay_alu instid0(VALU_DEP_4) | instskip(NEXT) | instid1(VALU_DEP_4)
	v_and_b32_e32 v11, 0xff, v8
	v_lshrrev_b16 v1, 10, v1
	s_delay_alu instid0(VALU_DEP_3) | instskip(NEXT) | instid1(VALU_DEP_3)
	v_mul_lo_u16 v9, 0x4f, v9
	v_mul_lo_u16 v11, 0x4f, v11
	s_delay_alu instid0(VALU_DEP_3) | instskip(NEXT) | instid1(VALU_DEP_3)
	v_mul_lo_u16 v1, v1, 13
	v_lshrrev_b16 v9, 10, v9
	s_delay_alu instid0(VALU_DEP_3) | instskip(NEXT) | instid1(VALU_DEP_3)
	v_lshrrev_b16 v11, 10, v11
	v_sub_nc_u16 v0, v0, v1
	s_delay_alu instid0(VALU_DEP_3) | instskip(NEXT) | instid1(VALU_DEP_2)
	v_mul_lo_u16 v9, v9, 13
	v_and_b32_e32 v0, 0xff, v0
	s_delay_alu instid0(VALU_DEP_2) | instskip(NEXT) | instid1(VALU_DEP_2)
	v_sub_nc_u16 v5, v5, v9
	v_lshlrev_b32_e32 v55, 3, v0
	s_delay_alu instid0(VALU_DEP_2) | instskip(SKIP_3) | instid1(VALU_DEP_2)
	v_and_b32_e32 v5, 0xff, v5
	global_load_b64 v[109:110], v55, s[0:1]
	v_and_b32_e32 v7, 0xff, v4
	v_lshlrev_b32_e32 v57, 3, v5
	v_mul_lo_u16 v7, 0x4f, v7
	s_delay_alu instid0(VALU_DEP_1) | instskip(NEXT) | instid1(VALU_DEP_1)
	v_lshrrev_b16 v7, 10, v7
	v_mul_lo_u16 v7, v7, 13
	s_delay_alu instid0(VALU_DEP_1) | instskip(SKIP_1) | instid1(VALU_DEP_2)
	v_sub_nc_u16 v4, v4, v7
	v_mul_lo_u16 v7, v11, 13
	v_and_b32_e32 v4, 0xff, v4
	s_delay_alu instid0(VALU_DEP_1) | instskip(SKIP_2) | instid1(VALU_DEP_1)
	v_lshlrev_b32_e32 v56, 3, v4
	global_load_b64 v[107:108], v56, s[0:1]
	v_and_b32_e32 v10, 0xff, v6
	v_mul_lo_u16 v10, 0x4f, v10
	s_delay_alu instid0(VALU_DEP_1) | instskip(NEXT) | instid1(VALU_DEP_1)
	v_lshrrev_b16 v10, 10, v10
	v_mul_lo_u16 v1, v10, 13
	s_delay_alu instid0(VALU_DEP_1) | instskip(SKIP_1) | instid1(VALU_DEP_2)
	v_sub_nc_u16 v1, v6, v1
	v_sub_nc_u16 v6, v8, v7
	v_and_b32_e32 v0, 0xff, v1
	s_delay_alu instid0(VALU_DEP_2) | instskip(NEXT) | instid1(VALU_DEP_2)
	v_and_b32_e32 v1, 0xff, v6
	v_lshlrev_b32_e32 v58, 3, v0
	s_delay_alu instid0(VALU_DEP_2)
	v_lshlrev_b32_e32 v59, 3, v1
	s_clause 0x2
	global_load_b64 v[105:106], v57, s[0:1]
	global_load_b64 v[103:104], v58, s[0:1]
	;; [unrolled: 1-line block ×3, first 2 shown]
	ds_load_2addr_b64 v[4:7], v118 offset0:78 offset1:91
	ds_load_2addr_b64 v[8:11], v118 offset0:104 offset1:117
	ds_load_2addr_b64 v[12:15], v118 offset1:13
	ds_load_2addr_b64 v[16:19], v118 offset0:26 offset1:39
	ds_load_2addr_b64 v[20:23], v118 offset0:130 offset1:143
	;; [unrolled: 1-line block ×4, first 2 shown]
	global_wb scope:SCOPE_SE
	s_wait_loadcnt_dscnt 0x0
	s_barrier_signal -1
	s_barrier_wait -1
	global_inv scope:SCOPE_SE
	v_mad_co_u64_u32 v[0:1], null, v117, 48, s[0:1]
	s_add_nc_u64 s[0:1], s[2:3], 0x5b0
	v_mul_f32_e32 v60, v7, v102
	v_mul_f32_e32 v61, v6, v102
	;; [unrolled: 1-line block ×4, first 2 shown]
	s_delay_alu instid0(VALU_DEP_4) | instskip(NEXT) | instid1(VALU_DEP_4)
	v_fma_f32 v6, v6, v101, -v60
	v_fmac_f32_e32 v61, v7, v101
	s_delay_alu instid0(VALU_DEP_4) | instskip(NEXT) | instid1(VALU_DEP_3)
	v_fma_f32 v8, v8, v101, -v62
	v_dual_fmac_f32 v63, v9, v101 :: v_dual_sub_f32 v6, v12, v6
	s_delay_alu instid0(VALU_DEP_2) | instskip(NEXT) | instid1(VALU_DEP_2)
	v_dual_sub_f32 v7, v13, v61 :: v_dual_sub_f32 v8, v14, v8
	v_sub_f32_e32 v9, v15, v63
	v_add_nc_u32_e32 v122, v115, v56
	s_delay_alu instid0(VALU_DEP_4) | instskip(NEXT) | instid1(VALU_DEP_4)
	v_fma_f32 v12, v12, 2.0, -v6
	v_fma_f32 v13, v13, 2.0, -v7
	;; [unrolled: 1-line block ×4, first 2 shown]
	ds_store_2addr_b64 v118, v[12:13], v[6:7] offset1:13
	ds_store_2addr_b64 v118, v[14:15], v[8:9] offset0:26 offset1:39
	v_mul_f32_e32 v6, v11, v110
	v_mul_f32_e32 v7, v10, v110
	v_add_nc_u32_e32 v120, v115, v58
	s_delay_alu instid0(VALU_DEP_3) | instskip(NEXT) | instid1(VALU_DEP_1)
	v_fma_f32 v6, v10, v109, -v6
	v_dual_sub_f32 v6, v16, v6 :: v_dual_add_nc_u32 v121, v115, v55
	s_delay_alu instid0(VALU_DEP_1) | instskip(SKIP_2) | instid1(VALU_DEP_2)
	v_fma_f32 v16, v16, 2.0, -v6
	v_mul_f32_e32 v8, v21, v108
	v_mul_f32_e32 v9, v20, v108
	v_fma_f32 v8, v20, v107, -v8
	s_delay_alu instid0(VALU_DEP_1) | instskip(NEXT) | instid1(VALU_DEP_1)
	v_dual_fmac_f32 v9, v21, v107 :: v_dual_sub_f32 v8, v18, v8
	v_sub_f32_e32 v9, v19, v9
	s_delay_alu instid0(VALU_DEP_2) | instskip(NEXT) | instid1(VALU_DEP_2)
	v_fma_f32 v18, v18, 2.0, -v8
	v_fma_f32 v19, v19, 2.0, -v9
	v_mul_f32_e32 v12, v23, v106
	v_dual_mul_f32 v14, v52, v104 :: v_dual_mul_f32 v13, v22, v106
	v_mul_f32_e32 v55, v54, v100
	v_mul_f32_e32 v56, v53, v100
	s_delay_alu instid0(VALU_DEP_4) | instskip(SKIP_3) | instid1(VALU_DEP_4)
	v_fma_f32 v10, v22, v105, -v12
	v_mul_f32_e32 v15, v51, v104
	v_fma_f32 v12, v51, v103, -v14
	v_fmac_f32_e32 v7, v11, v109
	v_dual_fmac_f32 v13, v23, v105 :: v_dual_sub_f32 v10, v24, v10
	s_delay_alu instid0(VALU_DEP_4)
	v_fmac_f32_e32 v15, v52, v103
	v_dual_fmac_f32 v56, v54, v99 :: v_dual_add_nc_u32 v123, v115, v57
	v_fma_f32 v14, v53, v99, -v55
	v_dual_sub_f32 v12, v26, v12 :: v_dual_sub_f32 v7, v17, v7
	v_add_nc_u32_e32 v119, v115, v59
	v_sub_f32_e32 v11, v25, v13
	s_delay_alu instid0(VALU_DEP_4)
	v_dual_sub_f32 v13, v27, v15 :: v_dual_sub_f32 v14, v4, v14
	v_sub_f32_e32 v15, v5, v56
	v_fma_f32 v17, v17, 2.0, -v7
	v_fma_f32 v20, v24, 2.0, -v10
	;; [unrolled: 1-line block ×7, first 2 shown]
	ds_store_2addr_b64 v121, v[16:17], v[6:7] offset0:52 offset1:65
	ds_store_2addr_b64 v122, v[18:19], v[8:9] offset0:78 offset1:91
	;; [unrolled: 1-line block ×5, first 2 shown]
	global_wb scope:SCOPE_SE
	s_wait_dscnt 0x0
	s_barrier_signal -1
	s_barrier_wait -1
	global_inv scope:SCOPE_SE
	s_clause 0x5
	global_load_b128 v[24:27], v[0:1], off offset:104
	global_load_b128 v[16:19], v[0:1], off offset:120
	;; [unrolled: 1-line block ×6, first 2 shown]
	ds_load_2addr_b64 v[51:54], v118 offset0:26 offset1:39
	ds_load_2addr_b64 v[55:58], v118 offset0:52 offset1:65
	;; [unrolled: 1-line block ×6, first 2 shown]
	ds_load_2addr_b64 v[130:133], v118 offset1:13
	s_wait_loadcnt_dscnt 0x506
	v_mul_f32_e32 v0, v52, v25
	v_mul_f32_e32 v1, v51, v25
	s_wait_loadcnt_dscnt 0x404
	v_mul_f32_e32 v114, v60, v17
	v_mul_f32_e32 v134, v59, v17
	s_wait_loadcnt_dscnt 0x103
	v_mul_f32_e32 v148, v65, v15
	s_wait_dscnt 0x1
	v_mul_f32_e32 v139, v127, v7
	v_dual_mul_f32 v71, v56, v27 :: v_dual_mul_f32 v146, v61, v13
	s_wait_loadcnt 0x0
	v_dual_mul_f32 v113, v55, v27 :: v_dual_mul_f32 v150, v69, v9
	v_mul_f32_e32 v138, v67, v5
	v_mul_f32_e32 v140, v126, v7
	v_mul_f32_e32 v142, v53, v21
	v_mul_f32_e32 v137, v68, v5
	v_mul_f32_e32 v135, v64, v19
	v_mul_f32_e32 v136, v63, v19
	v_dual_fmac_f32 v140, v127, v6 :: v_dual_mul_f32 v141, v54, v21
	v_mul_f32_e32 v152, v128, v11
	s_delay_alu instid0(VALU_DEP_3) | instskip(SKIP_3) | instid1(VALU_DEP_3)
	v_dual_mul_f32 v143, v58, v23 :: v_dual_fmac_f32 v136, v64, v18
	v_dual_mul_f32 v144, v57, v23 :: v_dual_mul_f32 v145, v62, v13
	v_dual_fmac_f32 v138, v68, v4 :: v_dual_mul_f32 v151, v129, v11
	v_fma_f32 v0, v51, v24, -v0
	v_dual_fmac_f32 v144, v58, v22 :: v_dual_fmac_f32 v1, v52, v24
	v_fmac_f32_e32 v148, v66, v14
	v_fma_f32 v52, v59, v16, -v114
	v_fmac_f32_e32 v134, v60, v16
	v_fma_f32 v59, v126, v6, -v139
	v_mul_f32_e32 v149, v70, v9
	v_dual_mul_f32 v147, v66, v15 :: v_dual_fmac_f32 v152, v129, v10
	v_fma_f32 v51, v55, v26, -v71
	v_dual_fmac_f32 v113, v56, v26 :: v_dual_fmac_f32 v146, v62, v12
	v_fmac_f32_e32 v142, v54, v20
	v_fma_f32 v56, v67, v4, -v137
	v_fma_f32 v55, v63, v18, -v135
	;; [unrolled: 1-line block ×5, first 2 shown]
	v_fmac_f32_e32 v150, v70, v8
	v_fma_f32 v61, v128, v10, -v151
	v_add_f32_e32 v62, v0, v59
	v_fma_f32 v60, v69, v8, -v149
	v_fma_f32 v58, v65, v14, -v147
	v_add_f32_e32 v65, v52, v55
	v_dual_add_f32 v63, v1, v140 :: v_dual_sub_f32 v0, v0, v59
	v_dual_add_f32 v59, v51, v56 :: v_dual_add_f32 v64, v113, v138
	v_dual_sub_f32 v1, v1, v140 :: v_dual_add_f32 v70, v144, v150
	v_dual_sub_f32 v51, v51, v56 :: v_dual_sub_f32 v56, v113, v138
	v_add_f32_e32 v66, v134, v136
	v_dual_sub_f32 v52, v55, v52 :: v_dual_add_f32 v67, v53, v61
	v_dual_sub_f32 v55, v136, v134 :: v_dual_add_f32 v68, v142, v152
	v_sub_f32_e32 v53, v53, v61
	v_add_f32_e32 v69, v54, v60
	v_sub_f32_e32 v61, v142, v152
	v_dual_sub_f32 v54, v54, v60 :: v_dual_add_f32 v71, v57, v58
	v_dual_sub_f32 v60, v144, v150 :: v_dual_add_f32 v113, v146, v148
	v_dual_add_f32 v114, v59, v62 :: v_dual_sub_f32 v57, v58, v57
	v_add_f32_e32 v126, v64, v63
	v_sub_f32_e32 v58, v148, v146
	v_dual_sub_f32 v127, v59, v62 :: v_dual_sub_f32 v128, v64, v63
	v_dual_sub_f32 v62, v62, v65 :: v_dual_sub_f32 v63, v63, v66
	;; [unrolled: 1-line block ×3, first 2 shown]
	v_dual_add_f32 v129, v52, v51 :: v_dual_add_f32 v134, v55, v56
	v_dual_sub_f32 v135, v52, v51 :: v_dual_sub_f32 v136, v55, v56
	v_sub_f32_e32 v137, v0, v52
	v_dual_sub_f32 v55, v1, v55 :: v_dual_sub_f32 v138, v51, v0
	v_dual_sub_f32 v56, v56, v1 :: v_dual_add_f32 v51, v69, v67
	v_dual_add_f32 v52, v70, v68 :: v_dual_sub_f32 v139, v69, v67
	v_dual_sub_f32 v140, v70, v68 :: v_dual_sub_f32 v67, v67, v71
	v_dual_sub_f32 v68, v68, v113 :: v_dual_add_f32 v141, v57, v54
	v_dual_sub_f32 v69, v71, v69 :: v_dual_add_f32 v142, v58, v60
	v_dual_sub_f32 v143, v57, v54 :: v_dual_sub_f32 v144, v58, v60
	v_dual_sub_f32 v57, v53, v57 :: v_dual_add_f32 v66, v66, v126
	v_dual_sub_f32 v58, v61, v58 :: v_dual_sub_f32 v145, v54, v53
	v_dual_sub_f32 v60, v60, v61 :: v_dual_add_f32 v65, v65, v114
	v_sub_f32_e32 v70, v113, v70
	v_dual_add_f32 v0, v129, v0 :: v_dual_add_f32 v1, v134, v1
	v_dual_mul_f32 v54, 0x3f4a47b2, v62 :: v_dual_add_f32 v71, v71, v51
	v_dual_mul_f32 v62, 0x3f4a47b2, v63 :: v_dual_add_f32 v113, v113, v52
	v_dual_mul_f32 v63, 0x3d64c772, v59 :: v_dual_mul_f32 v114, 0x3d64c772, v64
	v_dual_mul_f32 v126, 0xbf08b237, v135 :: v_dual_mul_f32 v129, 0xbf08b237, v136
	;; [unrolled: 1-line block ×3, first 2 shown]
	v_dual_add_f32 v136, v141, v53 :: v_dual_mul_f32 v67, 0x3f4a47b2, v67
	v_mul_f32_e32 v141, 0x3d64c772, v69
	v_dual_mul_f32 v143, 0xbf08b237, v143 :: v_dual_mul_f32 v144, 0xbf08b237, v144
	v_dual_mul_f32 v146, 0x3f5ff5aa, v145 :: v_dual_mul_f32 v147, 0x3f5ff5aa, v60
	s_wait_dscnt 0x0
	v_dual_add_f32 v51, v130, v65 :: v_dual_add_f32 v52, v131, v66
	v_dual_add_f32 v61, v142, v61 :: v_dual_mul_f32 v68, 0x3f4a47b2, v68
	v_dual_mul_f32 v142, 0x3d64c772, v70 :: v_dual_fmamk_f32 v59, v59, 0x3d64c772, v54
	v_fmamk_f32 v64, v64, 0x3d64c772, v62
	v_fma_f32 v63, 0x3f3bfb3b, v127, -v63
	v_fma_f32 v114, 0x3f3bfb3b, v128, -v114
	;; [unrolled: 1-line block ×4, first 2 shown]
	v_dual_fmamk_f32 v128, v137, 0x3eae86e6, v126 :: v_dual_add_f32 v53, v132, v71
	v_fmamk_f32 v130, v55, 0x3eae86e6, v129
	v_fma_f32 v126, 0x3f5ff5aa, v138, -v126
	v_fma_f32 v129, 0x3f5ff5aa, v56, -v129
	;; [unrolled: 1-line block ×4, first 2 shown]
	v_dual_add_f32 v54, v133, v113 :: v_dual_fmamk_f32 v133, v58, 0x3eae86e6, v144
	v_fmamk_f32 v55, v69, 0x3d64c772, v67
	v_fma_f32 v69, 0x3f3bfb3b, v139, -v141
	v_fma_f32 v67, 0xbf3bfb3b, v139, -v67
	v_fmamk_f32 v132, v57, 0x3eae86e6, v143
	v_fma_f32 v138, 0xbeae86e6, v57, -v146
	v_fma_f32 v139, 0xbeae86e6, v58, -v147
	v_dual_fmamk_f32 v57, v65, 0xbf955555, v51 :: v_dual_fmamk_f32 v58, v66, 0xbf955555, v52
	v_fma_f32 v137, 0x3f5ff5aa, v60, -v144
	v_fmamk_f32 v56, v70, 0x3d64c772, v68
	v_fma_f32 v70, 0x3f3bfb3b, v140, -v142
	s_delay_alu instid0(VALU_DEP_4)
	v_add_f32_e32 v65, v59, v57
	v_fma_f32 v68, 0xbf3bfb3b, v140, -v68
	v_fma_f32 v135, 0x3f5ff5aa, v145, -v143
	v_dual_fmac_f32 v128, 0x3ee1c552, v0 :: v_dual_fmac_f32 v129, 0x3ee1c552, v1
	v_dual_fmac_f32 v130, 0x3ee1c552, v1 :: v_dual_fmac_f32 v131, 0x3ee1c552, v0
	;; [unrolled: 1-line block ×3, first 2 shown]
	s_delay_alu instid0(VALU_DEP_4)
	v_dual_fmac_f32 v134, 0x3ee1c552, v1 :: v_dual_fmac_f32 v135, 0x3ee1c552, v136
	v_dual_fmamk_f32 v0, v71, 0xbf955555, v53 :: v_dual_fmamk_f32 v1, v113, 0xbf955555, v54
	v_dual_fmac_f32 v139, 0x3ee1c552, v61 :: v_dual_add_f32 v66, v64, v58
	v_dual_add_f32 v64, v127, v57 :: v_dual_add_f32 v71, v62, v58
	v_dual_fmac_f32 v137, 0x3ee1c552, v61 :: v_dual_fmac_f32 v138, 0x3ee1c552, v136
	v_dual_add_f32 v61, v63, v57 :: v_dual_fmac_f32 v132, 0x3ee1c552, v136
	v_dual_add_f32 v63, v114, v58 :: v_dual_add_f32 v136, v55, v0
	v_add_f32_e32 v141, v70, v1
	v_dual_add_f32 v140, v56, v1 :: v_dual_add_f32 v127, v69, v0
	v_dual_add_f32 v0, v67, v0 :: v_dual_add_f32 v1, v68, v1
	v_dual_add_f32 v55, v130, v65 :: v_dual_sub_f32 v58, v71, v131
	v_dual_sub_f32 v56, v66, v128 :: v_dual_sub_f32 v59, v61, v129
	v_dual_add_f32 v57, v134, v64 :: v_dual_sub_f32 v62, v63, v126
	v_dual_add_f32 v60, v126, v63 :: v_dual_add_f32 v61, v129, v61
	v_dual_sub_f32 v63, v64, v134 :: v_dual_add_f32 v64, v131, v71
	v_dual_sub_f32 v65, v65, v130 :: v_dual_sub_f32 v68, v140, v132
	v_dual_add_f32 v66, v128, v66 :: v_dual_add_f32 v67, v133, v136
	v_dual_add_f32 v69, v139, v0 :: v_dual_sub_f32 v70, v1, v138
	v_dual_sub_f32 v113, v127, v137 :: v_dual_add_f32 v126, v137, v127
	v_dual_add_f32 v114, v135, v141 :: v_dual_sub_f32 v127, v141, v135
	v_dual_sub_f32 v128, v0, v139 :: v_dual_add_f32 v129, v138, v1
	v_sub_f32_e32 v0, v136, v133
	v_add_f32_e32 v1, v132, v140
	ds_store_2addr_b64 v118, v[55:56], v[57:58] offset0:26 offset1:52
	ds_store_2addr_b64 v118, v[59:60], v[61:62] offset0:78 offset1:104
	;; [unrolled: 1-line block ×3, first 2 shown]
	ds_store_2addr_b64 v118, v[51:52], v[53:54] offset1:13
	ds_store_2addr_b64 v125, v[67:68], v[69:70] offset0:39 offset1:65
	ds_store_2addr_b64 v125, v[113:114], v[126:127] offset0:91 offset1:117
	;; [unrolled: 1-line block ×3, first 2 shown]
	global_wb scope:SCOPE_SE
	s_wait_dscnt 0x0
	s_barrier_signal -1
	s_barrier_wait -1
	global_inv scope:SCOPE_SE
	s_clause 0xc
	global_load_b64 v[113:114], v[48:49], off offset:1456
	global_load_b64 v[126:127], v50, s[0:1] offset:112
	global_load_b64 v[128:129], v50, s[0:1] offset:224
	;; [unrolled: 1-line block ×12, first 2 shown]
	ds_load_2addr_b64 v[48:51], v118 offset1:14
	ds_load_2addr_b64 v[52:55], v118 offset0:28 offset1:42
	ds_load_2addr_b64 v[56:59], v118 offset0:56 offset1:70
	;; [unrolled: 1-line block ×5, first 2 shown]
	ds_load_b64 v[150:151], v118 offset:1344
	s_wait_loadcnt_dscnt 0xc06
	v_mul_f32_e32 v152, v49, v114
	s_wait_loadcnt 0xb
	v_dual_mul_f32 v153, v48, v114 :: v_dual_mul_f32 v154, v51, v127
	s_wait_loadcnt_dscnt 0xa05
	v_dual_mul_f32 v114, v50, v127 :: v_dual_mul_f32 v155, v53, v129
	s_wait_loadcnt 0x9
	v_dual_mul_f32 v127, v52, v129 :: v_dual_mul_f32 v156, v55, v131
	v_mul_f32_e32 v129, v54, v131
	s_wait_loadcnt_dscnt 0x704
	v_dual_mul_f32 v157, v57, v133 :: v_dual_mul_f32 v158, v59, v135
	s_wait_loadcnt_dscnt 0x503
	v_dual_mul_f32 v131, v56, v133 :: v_dual_mul_f32 v160, v63, v139
	v_dual_mul_f32 v133, v58, v135 :: v_dual_fmac_f32 v114, v51, v126
	s_wait_loadcnt_dscnt 0x302
	v_dual_mul_f32 v159, v61, v137 :: v_dual_mul_f32 v162, v67, v143
	s_wait_loadcnt_dscnt 0x101
	v_dual_mul_f32 v135, v60, v137 :: v_dual_mul_f32 v164, v71, v147
	v_mul_f32_e32 v137, v62, v139
	v_mul_f32_e32 v161, v65, v141
	;; [unrolled: 1-line block ×7, first 2 shown]
	s_wait_loadcnt_dscnt 0x0
	v_mul_f32_e32 v165, v151, v149
	v_mul_f32_e32 v147, v150, v149
	v_fma_f32 v152, v48, v113, -v152
	v_fmac_f32_e32 v153, v49, v113
	v_fma_f32 v113, v50, v126, -v154
	v_fma_f32 v126, v52, v128, -v155
	v_fmac_f32_e32 v127, v53, v128
	v_fma_f32 v128, v54, v130, -v156
	v_fmac_f32_e32 v129, v55, v130
	;; [unrolled: 2-line block ×11, first 2 shown]
	ds_store_2addr_b64 v118, v[152:153], v[113:114] offset1:14
	ds_store_2addr_b64 v118, v[126:127], v[128:129] offset0:28 offset1:42
	ds_store_2addr_b64 v118, v[130:131], v[132:133] offset0:56 offset1:70
	;; [unrolled: 1-line block ×5, first 2 shown]
	ds_store_b64 v118, v[146:147] offset:1344
	s_and_saveexec_b32 s0, vcc_lo
	s_cbranch_execz .LBB0_9
; %bb.8:
	ds_load_2addr_b64 v[48:51], v115 offset0:13 offset1:27
	s_clause 0x1
	s_load_b64 s[8:9], s[2:3], 0x618
	s_load_b64 s[12:13], s[2:3], 0x688
	ds_load_2addr_b64 v[52:55], v115 offset0:41 offset1:55
	s_clause 0x1
	s_load_b64 s[14:15], s[2:3], 0x6f8
	s_load_b64 s[16:17], s[2:3], 0x768
	ds_load_2addr_b64 v[56:59], v115 offset0:69 offset1:83
	ds_load_2addr_b64 v[60:63], v115 offset0:97 offset1:111
	s_clause 0x1
	s_load_b64 s[18:19], s[2:3], 0x7d8
	s_load_b64 s[20:21], s[2:3], 0x848
	s_wait_dscnt 0x3
	s_wait_kmcnt 0x0
	v_dual_mul_f32 v64, s9, v49 :: v_dual_mul_f32 v65, s9, v48
	v_dual_mul_f32 v66, s13, v51 :: v_dual_mul_f32 v67, s13, v50
	s_wait_dscnt 0x2
	v_dual_mul_f32 v68, s15, v53 :: v_dual_mul_f32 v69, s15, v52
	v_dual_mul_f32 v70, s17, v55 :: v_dual_mul_f32 v71, s17, v54
	v_fma_f32 v64, v48, s8, -v64
	v_fmac_f32_e32 v65, s8, v49
	v_fma_f32 v66, v50, s12, -v66
	s_load_b64 s[8:9], s[2:3], 0x8b8
	v_fmac_f32_e32 v67, s12, v51
	v_fma_f32 v68, v52, s14, -v68
	v_fma_f32 v70, v54, s16, -v70
	s_load_b64 s[12:13], s[2:3], 0x928
	s_wait_dscnt 0x1
	v_mul_f32_e32 v48, s19, v57
	v_fmac_f32_e32 v69, s14, v53
	v_fmac_f32_e32 v71, s16, v55
	ds_store_2addr_b64 v115, v[64:65], v[66:67] offset0:13 offset1:27
	ds_store_2addr_b64 v115, v[68:69], v[70:71] offset0:41 offset1:55
	v_fma_f32 v64, v56, s18, -v48
	ds_load_2addr_b64 v[48:51], v115 offset0:125 offset1:139
	s_clause 0x2
	s_load_b64 s[14:15], s[2:3], 0x998
	s_load_b64 s[16:17], s[2:3], 0xa08
	;; [unrolled: 1-line block ×3, first 2 shown]
	v_mul_f32_e32 v65, s19, v56
	ds_load_2addr_b64 v[52:55], v115 offset0:153 offset1:167
	ds_load_b64 v[68:69], v115 offset:1448
	s_load_b64 s[24:25], s[2:3], 0xb58
	v_dual_mul_f32 v56, s21, v59 :: v_dual_fmac_f32 v65, s18, v57
	s_load_b64 s[18:19], s[2:3], 0xae8
	v_mul_f32_e32 v57, s21, v58
	s_wait_dscnt 0x5
	s_wait_kmcnt 0x0
	v_mul_f32_e32 v67, s9, v60
	v_fma_f32 v56, v58, s20, -v56
	v_mul_f32_e32 v58, s9, v61
	v_dual_mul_f32 v70, s13, v63 :: v_dual_mul_f32 v71, s13, v62
	s_delay_alu instid0(VALU_DEP_4) | instskip(NEXT) | instid1(VALU_DEP_3)
	v_fmac_f32_e32 v67, s8, v61
	v_fma_f32 v66, v60, s8, -v58
	s_delay_alu instid0(VALU_DEP_3)
	v_fma_f32 v70, v62, s12, -v70
	s_wait_dscnt 0x2
	v_mul_f32_e32 v58, s15, v49
	v_dual_mul_f32 v60, s17, v51 :: v_dual_mul_f32 v61, s17, v50
	s_wait_dscnt 0x1
	v_dual_mul_f32 v62, s23, v53 :: v_dual_fmac_f32 v57, s20, v59
	v_mul_f32_e32 v59, s15, v48
	s_delay_alu instid0(VALU_DEP_3) | instskip(SKIP_2) | instid1(VALU_DEP_4)
	v_fma_f32 v60, v50, s16, -v60
	v_fmac_f32_e32 v61, s16, v51
	v_dual_mul_f32 v50, s19, v55 :: v_dual_mul_f32 v51, s19, v54
	v_fmac_f32_e32 v59, s14, v49
	v_mul_f32_e32 v49, s23, v52
	v_fma_f32 v58, v48, s14, -v58
	v_fma_f32 v48, v52, s22, -v62
	s_wait_dscnt 0x0
	v_dual_mul_f32 v52, s25, v69 :: v_dual_fmac_f32 v71, s12, v63
	v_mul_f32_e32 v63, s25, v68
	v_fmac_f32_e32 v49, s22, v53
	v_fma_f32 v50, v54, s18, -v50
	v_fmac_f32_e32 v51, s18, v55
	v_fma_f32 v62, v68, s24, -v52
	v_fmac_f32_e32 v63, s24, v69
	ds_store_2addr_b64 v115, v[64:65], v[56:57] offset0:69 offset1:83
	ds_store_2addr_b64 v115, v[66:67], v[70:71] offset0:97 offset1:111
	;; [unrolled: 1-line block ×4, first 2 shown]
	ds_store_b64 v115, v[62:63] offset:1448
.LBB0_9:
	s_wait_alu 0xfffe
	s_or_b32 exec_lo, exec_lo, s0
	global_wb scope:SCOPE_SE
	s_wait_dscnt 0x0
	s_barrier_signal -1
	s_barrier_wait -1
	global_inv scope:SCOPE_SE
	ds_load_2addr_b64 v[68:71], v118 offset1:14
	ds_load_2addr_b64 v[60:63], v118 offset0:28 offset1:42
	ds_load_2addr_b64 v[52:55], v118 offset0:56 offset1:70
	;; [unrolled: 1-line block ×5, first 2 shown]
	ds_load_b64 v[113:114], v118 offset:1344
	s_and_saveexec_b32 s0, vcc_lo
	s_cbranch_execz .LBB0_11
; %bb.10:
	ds_load_2addr_b64 v[0:3], v115 offset0:13 offset1:27
	ds_load_2addr_b64 v[32:35], v115 offset0:41 offset1:55
	;; [unrolled: 1-line block ×6, first 2 shown]
	ds_load_b64 v[111:112], v115 offset:1448
.LBB0_11:
	s_wait_alu 0xfffe
	s_or_b32 exec_lo, exec_lo, s0
	s_wait_dscnt 0x6
	v_dual_add_f32 v126, v68, v70 :: v_dual_add_f32 v127, v69, v71
	s_wait_dscnt 0x0
	v_dual_add_f32 v128, v113, v70 :: v_dual_add_nc_u32 v125, 0x68, v125
	v_dual_sub_f32 v129, v71, v114 :: v_dual_add_f32 v130, v114, v71
	s_delay_alu instid0(VALU_DEP_3)
	v_dual_add_f32 v126, v126, v60 :: v_dual_add_f32 v127, v127, v61
	v_sub_f32_e32 v131, v70, v113
	global_wb scope:SCOPE_SE
	s_barrier_signal -1
	v_dual_add_f32 v70, v126, v62 :: v_dual_add_f32 v71, v127, v63
	v_mul_f32_e32 v127, 0x3f62ad3f, v130
	s_barrier_wait -1
	global_inv scope:SCOPE_SE
	v_dual_add_f32 v70, v70, v52 :: v_dual_add_f32 v71, v71, v53
	v_dual_mul_f32 v144, 0xbf29c268, v129 :: v_dual_sub_f32 v149, v61, v67
	v_add_f32_e32 v151, v66, v60
	s_delay_alu instid0(VALU_DEP_3) | instskip(NEXT) | instid1(VALU_DEP_4)
	v_add_f32_e32 v70, v70, v54
	v_dual_mul_f32 v126, 0xbeedf032, v129 :: v_dual_add_f32 v71, v71, v55
	v_mul_f32_e32 v133, 0x3f116cb1, v130
	v_fmamk_f32 v146, v128, 0xbf3f9e67, v144
	s_delay_alu instid0(VALU_DEP_3) | instskip(SKIP_3) | instid1(VALU_DEP_4)
	v_dual_add_f32 v70, v70, v48 :: v_dual_fmamk_f32 v137, v128, 0x3f62ad3f, v126
	v_fma_f32 v126, 0x3f62ad3f, v128, -v126
	v_fma_f32 v144, 0xbf3f9e67, v128, -v144
	v_mul_f32_e32 v145, 0xbf3f9e67, v130
	v_add_f32_e32 v70, v70, v50
	v_mul_f32_e32 v135, 0x3df6dbef, v130
	v_dual_fmamk_f32 v138, v131, 0x3eedf032, v127 :: v_dual_add_f32 v137, v68, v137
	v_add_f32_e32 v126, v68, v126
	s_delay_alu instid0(VALU_DEP_4) | instskip(NEXT) | instid1(VALU_DEP_3)
	v_dual_add_f32 v70, v70, v56 :: v_dual_add_f32 v71, v71, v49
	v_dual_add_f32 v138, v69, v138 :: v_dual_fmac_f32 v127, 0xbeedf032, v131
	v_mul_f32_e32 v136, 0xbf6f5d39, v129
	s_delay_alu instid0(VALU_DEP_3) | instskip(NEXT) | instid1(VALU_DEP_4)
	v_add_f32_e32 v70, v70, v58
	v_dual_mul_f32 v132, 0xbf52af12, v129 :: v_dual_add_f32 v71, v71, v51
	s_delay_alu instid0(VALU_DEP_4) | instskip(NEXT) | instid1(VALU_DEP_2)
	v_dual_add_f32 v127, v69, v127 :: v_dual_add_f32 v144, v68, v144
	v_dual_add_f32 v70, v70, v64 :: v_dual_fmamk_f32 v139, v128, 0x3f116cb1, v132
	s_delay_alu instid0(VALU_DEP_3) | instskip(SKIP_2) | instid1(VALU_DEP_4)
	v_add_f32_e32 v71, v71, v57
	v_fma_f32 v132, 0x3f116cb1, v128, -v132
	v_fmamk_f32 v140, v131, 0x3f52af12, v133
	v_dual_add_f32 v70, v70, v66 :: v_dual_add_f32 v139, v68, v139
	s_delay_alu instid0(VALU_DEP_4) | instskip(NEXT) | instid1(VALU_DEP_4)
	v_dual_mul_f32 v134, 0xbf7e222b, v129 :: v_dual_add_f32 v71, v71, v59
	v_dual_add_f32 v132, v68, v132 :: v_dual_fmac_f32 v133, 0xbf52af12, v131
	s_delay_alu instid0(VALU_DEP_2) | instskip(NEXT) | instid1(VALU_DEP_4)
	v_dual_add_f32 v140, v69, v140 :: v_dual_fmamk_f32 v141, v128, 0x3df6dbef, v134
	v_add_f32_e32 v70, v70, v113
	s_delay_alu instid0(VALU_DEP_4) | instskip(NEXT) | instid1(VALU_DEP_4)
	v_add_f32_e32 v71, v71, v65
	v_dual_fmamk_f32 v142, v131, 0x3f7e222b, v135 :: v_dual_add_f32 v133, v69, v133
	v_fma_f32 v134, 0x3df6dbef, v128, -v134
	v_fmac_f32_e32 v135, 0xbf7e222b, v131
	s_delay_alu instid0(VALU_DEP_4) | instskip(SKIP_1) | instid1(VALU_DEP_3)
	v_add_f32_e32 v71, v71, v67
	v_dual_mul_f32 v129, 0xbe750f2a, v129 :: v_dual_sub_f32 v60, v60, v66
	v_dual_add_f32 v134, v68, v134 :: v_dual_add_f32 v135, v69, v135
	s_delay_alu instid0(VALU_DEP_3) | instskip(SKIP_1) | instid1(VALU_DEP_4)
	v_add_f32_e32 v71, v71, v114
	v_mul_f32_e32 v114, 0xbeb58ec6, v130
	v_fmamk_f32 v148, v128, 0xbf788fa5, v129
	v_fmamk_f32 v147, v131, 0x3f29c268, v145
	v_fmac_f32_e32 v145, 0xbf29c268, v131
	v_mul_f32_e32 v152, 0xbf52af12, v149
	v_fmamk_f32 v143, v131, 0x3f6f5d39, v114
	v_fmac_f32_e32 v114, 0xbf6f5d39, v131
	s_delay_alu instid0(VALU_DEP_4) | instskip(SKIP_2) | instid1(VALU_DEP_4)
	v_dual_add_f32 v148, v68, v148 :: v_dual_add_f32 v145, v69, v145
	v_fmamk_f32 v113, v128, 0xbeb58ec6, v136
	v_fma_f32 v136, 0xbeb58ec6, v128, -v136
	v_dual_add_f32 v114, v69, v114 :: v_dual_add_f32 v141, v68, v141
	s_delay_alu instid0(VALU_DEP_3) | instskip(SKIP_1) | instid1(VALU_DEP_4)
	v_dual_add_f32 v142, v69, v142 :: v_dual_add_f32 v113, v68, v113
	v_dual_mul_f32 v130, 0xbf788fa5, v130 :: v_dual_add_f32 v147, v69, v147
	v_dual_add_f32 v136, v68, v136 :: v_dual_add_f32 v143, v69, v143
	v_add_f32_e32 v146, v68, v146
	s_delay_alu instid0(VALU_DEP_3) | instskip(SKIP_2) | instid1(VALU_DEP_3)
	v_fmamk_f32 v150, v131, 0x3e750f2a, v130
	v_dual_fmac_f32 v130, 0xbe750f2a, v131 :: v_dual_add_f32 v61, v67, v61
	v_fma_f32 v67, 0xbf788fa5, v128, -v129
	v_dual_fmamk_f32 v66, v151, 0x3f116cb1, v152 :: v_dual_add_f32 v129, v69, v150
	v_fma_f32 v131, 0x3f116cb1, v151, -v152
	s_delay_alu instid0(VALU_DEP_2) | instskip(SKIP_2) | instid1(VALU_DEP_4)
	v_dual_add_f32 v67, v68, v67 :: v_dual_add_f32 v66, v66, v137
	v_add_f32_e32 v68, v69, v130
	v_mul_f32_e32 v128, 0x3f116cb1, v61
	v_add_f32_e32 v126, v131, v126
	v_mul_f32_e32 v150, 0xbf3f9e67, v61
	s_delay_alu instid0(VALU_DEP_3) | instskip(NEXT) | instid1(VALU_DEP_1)
	v_fmamk_f32 v69, v60, 0x3f52af12, v128
	v_dual_add_f32 v69, v69, v138 :: v_dual_fmac_f32 v128, 0xbf52af12, v60
	s_delay_alu instid0(VALU_DEP_1) | instskip(NEXT) | instid1(VALU_DEP_1)
	v_dual_mul_f32 v130, 0xbf6f5d39, v149 :: v_dual_add_f32 v127, v128, v127
	v_dual_mul_f32 v137, 0xbeb58ec6, v61 :: v_dual_fmamk_f32 v138, v151, 0xbeb58ec6, v130
	v_mul_f32_e32 v131, 0xbe750f2a, v149
	v_fma_f32 v130, 0xbeb58ec6, v151, -v130
	s_delay_alu instid0(VALU_DEP_3) | instskip(NEXT) | instid1(VALU_DEP_4)
	v_fmamk_f32 v128, v60, 0x3f6f5d39, v137
	v_dual_add_f32 v138, v138, v139 :: v_dual_fmac_f32 v137, 0xbf6f5d39, v60
	s_delay_alu instid0(VALU_DEP_4) | instskip(SKIP_1) | instid1(VALU_DEP_4)
	v_fmamk_f32 v139, v151, 0xbf788fa5, v131
	v_fma_f32 v131, 0xbf788fa5, v151, -v131
	v_add_f32_e32 v128, v128, v140
	v_mul_f32_e32 v140, 0xbf788fa5, v61
	s_delay_alu instid0(VALU_DEP_3) | instskip(SKIP_4) | instid1(VALU_DEP_3)
	v_dual_add_f32 v130, v130, v132 :: v_dual_add_f32 v131, v131, v134
	v_add_f32_e32 v132, v137, v133
	v_mul_f32_e32 v133, 0x3f29c268, v149
	v_add_f32_e32 v137, v139, v141
	v_fmamk_f32 v139, v60, 0x3e750f2a, v140
	v_fmamk_f32 v141, v151, 0xbf3f9e67, v133
	v_fmac_f32_e32 v140, 0xbe750f2a, v60
	v_fma_f32 v133, 0xbf3f9e67, v151, -v133
	s_delay_alu instid0(VALU_DEP_4) | instskip(NEXT) | instid1(VALU_DEP_3)
	v_add_f32_e32 v139, v139, v142
	v_dual_add_f32 v113, v141, v113 :: v_dual_add_f32 v134, v140, v135
	v_fmamk_f32 v135, v60, 0xbf29c268, v150
	v_fmac_f32_e32 v150, 0x3f29c268, v60
	s_delay_alu instid0(VALU_DEP_1) | instskip(NEXT) | instid1(VALU_DEP_3)
	v_add_f32_e32 v114, v150, v114
	v_dual_mul_f32 v140, 0x3f7e222b, v149 :: v_dual_add_f32 v135, v135, v143
	v_mul_f32_e32 v141, 0x3df6dbef, v61
	v_mul_f32_e32 v61, 0x3f62ad3f, v61
	s_delay_alu instid0(VALU_DEP_3) | instskip(NEXT) | instid1(VALU_DEP_3)
	v_dual_fmamk_f32 v142, v151, 0x3df6dbef, v140 :: v_dual_add_f32 v133, v133, v136
	v_fmamk_f32 v136, v60, 0xbf7e222b, v141
	v_mul_f32_e32 v143, 0x3eedf032, v149
	v_fma_f32 v140, 0x3df6dbef, v151, -v140
	s_delay_alu instid0(VALU_DEP_4) | instskip(NEXT) | instid1(VALU_DEP_4)
	v_dual_add_f32 v142, v142, v146 :: v_dual_fmac_f32 v141, 0x3f7e222b, v60
	v_add_f32_e32 v136, v136, v147
	s_delay_alu instid0(VALU_DEP_4) | instskip(NEXT) | instid1(VALU_DEP_4)
	v_fmamk_f32 v146, v151, 0x3f62ad3f, v143
	v_add_f32_e32 v140, v140, v144
	v_sub_f32_e32 v144, v63, v65
	v_add_f32_e32 v141, v141, v145
	v_add_f32_e32 v147, v64, v62
	v_add_f32_e32 v145, v146, v148
	s_delay_alu instid0(VALU_DEP_4) | instskip(SKIP_3) | instid1(VALU_DEP_4)
	v_dual_add_f32 v63, v65, v63 :: v_dual_mul_f32 v148, 0xbf7e222b, v144
	v_fma_f32 v65, 0x3f62ad3f, v151, -v143
	v_fmamk_f32 v146, v60, 0xbeedf032, v61
	v_fmac_f32_e32 v61, 0x3eedf032, v60
	v_dual_sub_f32 v60, v62, v64 :: v_dual_mul_f32 v143, 0xbf788fa5, v63
	s_delay_alu instid0(VALU_DEP_4) | instskip(NEXT) | instid1(VALU_DEP_4)
	v_dual_add_f32 v65, v65, v67 :: v_dual_fmamk_f32 v62, v147, 0x3df6dbef, v148
	v_dual_add_f32 v129, v146, v129 :: v_dual_mul_f32 v146, 0x3f62ad3f, v63
	s_delay_alu instid0(VALU_DEP_2) | instskip(SKIP_2) | instid1(VALU_DEP_2)
	v_add_f32_e32 v62, v62, v66
	v_dual_mul_f32 v64, 0x3df6dbef, v63 :: v_dual_add_f32 v61, v61, v68
	v_fma_f32 v68, 0x3df6dbef, v147, -v148
	v_fmamk_f32 v66, v60, 0x3f7e222b, v64
	s_delay_alu instid0(VALU_DEP_2) | instskip(SKIP_1) | instid1(VALU_DEP_2)
	v_dual_mul_f32 v67, 0xbe750f2a, v144 :: v_dual_add_f32 v68, v68, v126
	v_fmamk_f32 v126, v60, 0x3e750f2a, v143
	v_dual_add_f32 v66, v66, v69 :: v_dual_fmamk_f32 v69, v147, 0xbf788fa5, v67
	v_fma_f32 v67, 0xbf788fa5, v147, -v67
	s_delay_alu instid0(VALU_DEP_2) | instskip(NEXT) | instid1(VALU_DEP_1)
	v_dual_fmac_f32 v64, 0xbf7e222b, v60 :: v_dual_add_f32 v69, v69, v138
	v_dual_add_f32 v67, v67, v130 :: v_dual_add_f32 v64, v64, v127
	v_mul_f32_e32 v127, 0x3f6f5d39, v144
	v_mul_f32_e32 v138, 0xbeb58ec6, v63
	v_add_f32_e32 v126, v126, v128
	s_delay_alu instid0(VALU_DEP_3) | instskip(SKIP_2) | instid1(VALU_DEP_3)
	v_fmamk_f32 v128, v147, 0xbeb58ec6, v127
	v_fmac_f32_e32 v143, 0xbe750f2a, v60
	v_fma_f32 v127, 0xbeb58ec6, v147, -v127
	v_add_f32_e32 v128, v128, v137
	s_delay_alu instid0(VALU_DEP_3) | instskip(NEXT) | instid1(VALU_DEP_3)
	v_add_f32_e32 v130, v143, v132
	v_dual_mul_f32 v132, 0x3eedf032, v144 :: v_dual_add_f32 v127, v127, v131
	s_delay_alu instid0(VALU_DEP_1) | instskip(SKIP_1) | instid1(VALU_DEP_2)
	v_fmamk_f32 v143, v147, 0x3f62ad3f, v132
	v_fma_f32 v132, 0x3f62ad3f, v147, -v132
	v_add_f32_e32 v113, v143, v113
	v_fmamk_f32 v137, v60, 0xbf6f5d39, v138
	v_fmac_f32_e32 v138, 0x3f6f5d39, v60
	s_delay_alu instid0(VALU_DEP_4) | instskip(NEXT) | instid1(VALU_DEP_3)
	v_dual_add_f32 v132, v132, v133 :: v_dual_mul_f32 v143, 0xbf29c268, v144
	v_add_f32_e32 v137, v137, v139
	v_mul_f32_e32 v139, 0x3f116cb1, v63
	s_delay_alu instid0(VALU_DEP_4) | instskip(SKIP_1) | instid1(VALU_DEP_3)
	v_add_f32_e32 v131, v138, v134
	v_mul_f32_e32 v63, 0xbf3f9e67, v63
	v_fmamk_f32 v133, v60, 0x3f52af12, v139
	v_fmamk_f32 v134, v60, 0xbeedf032, v146
	v_fmac_f32_e32 v139, 0xbf52af12, v60
	v_mul_f32_e32 v138, 0xbf52af12, v144
	v_fmac_f32_e32 v146, 0x3eedf032, v60
	v_dual_add_f32 v133, v133, v136 :: v_dual_fmamk_f32 v136, v147, 0xbf3f9e67, v143
	s_delay_alu instid0(VALU_DEP_4) | instskip(NEXT) | instid1(VALU_DEP_4)
	v_dual_add_f32 v139, v139, v141 :: v_dual_add_f32 v134, v134, v135
	v_fmamk_f32 v135, v147, 0x3f116cb1, v138
	v_fma_f32 v138, 0x3f116cb1, v147, -v138
	v_fmamk_f32 v141, v60, 0x3f29c268, v63
	v_dual_add_f32 v136, v136, v145 :: v_dual_fmac_f32 v63, 0xbf29c268, v60
	s_delay_alu instid0(VALU_DEP_3) | instskip(SKIP_1) | instid1(VALU_DEP_4)
	v_dual_add_f32 v135, v135, v142 :: v_dual_add_f32 v138, v138, v140
	v_sub_f32_e32 v140, v53, v59
	v_dual_add_f32 v142, v58, v52 :: v_dual_add_f32 v129, v141, v129
	v_add_f32_e32 v53, v59, v53
	v_fma_f32 v59, 0xbf3f9e67, v147, -v143
	s_delay_alu instid0(VALU_DEP_4) | instskip(SKIP_1) | instid1(VALU_DEP_4)
	v_mul_f32_e32 v144, 0xbf6f5d39, v140
	v_dual_sub_f32 v52, v52, v58 :: v_dual_add_f32 v61, v63, v61
	v_mul_f32_e32 v60, 0xbeb58ec6, v53
	s_delay_alu instid0(VALU_DEP_4) | instskip(NEXT) | instid1(VALU_DEP_4)
	v_add_f32_e32 v59, v59, v65
	v_fma_f32 v65, 0xbeb58ec6, v142, -v144
	v_fmamk_f32 v58, v142, 0xbeb58ec6, v144
	v_dual_mul_f32 v63, 0x3f29c268, v140 :: v_dual_add_f32 v114, v146, v114
	s_delay_alu instid0(VALU_DEP_2) | instskip(SKIP_3) | instid1(VALU_DEP_3)
	v_dual_add_f32 v65, v65, v68 :: v_dual_add_f32 v58, v58, v62
	v_fmamk_f32 v62, v52, 0x3f6f5d39, v60
	v_mul_f32_e32 v141, 0xbf3f9e67, v53
	v_mul_f32_e32 v68, 0x3eedf032, v140
	v_add_f32_e32 v62, v62, v66
	v_fmamk_f32 v66, v142, 0xbf3f9e67, v63
	v_fma_f32 v63, 0xbf3f9e67, v142, -v63
	s_delay_alu instid0(VALU_DEP_1) | instskip(SKIP_3) | instid1(VALU_DEP_3)
	v_dual_add_f32 v66, v66, v69 :: v_dual_add_f32 v63, v63, v67
	v_fmac_f32_e32 v60, 0xbf6f5d39, v52
	v_fmamk_f32 v69, v142, 0x3f62ad3f, v68
	v_fma_f32 v68, 0x3f62ad3f, v142, -v68
	v_dual_mul_f32 v143, 0x3df6dbef, v53 :: v_dual_add_f32 v60, v60, v64
	s_delay_alu instid0(VALU_DEP_2) | instskip(NEXT) | instid1(VALU_DEP_2)
	v_dual_add_f32 v69, v69, v128 :: v_dual_add_f32 v68, v68, v127
	v_fmamk_f32 v127, v52, 0x3f7e222b, v143
	v_fmamk_f32 v64, v52, 0xbf29c268, v141
	v_fmac_f32_e32 v141, 0x3f29c268, v52
	v_fmac_f32_e32 v143, 0xbf7e222b, v52
	s_delay_alu instid0(VALU_DEP_4) | instskip(NEXT) | instid1(VALU_DEP_3)
	v_add_f32_e32 v127, v127, v134
	v_dual_add_f32 v67, v141, v130 :: v_dual_mul_f32 v130, 0xbf7e222b, v140
	v_add_f32_e32 v64, v64, v126
	v_mul_f32_e32 v126, 0x3f62ad3f, v53
	s_delay_alu instid0(VALU_DEP_3) | instskip(SKIP_1) | instid1(VALU_DEP_2)
	v_fmamk_f32 v141, v142, 0x3df6dbef, v130
	v_fma_f32 v130, 0x3df6dbef, v142, -v130
	v_dual_fmamk_f32 v128, v52, 0xbeedf032, v126 :: v_dual_add_f32 v113, v141, v113
	s_delay_alu instid0(VALU_DEP_2) | instskip(NEXT) | instid1(VALU_DEP_2)
	v_add_f32_e32 v130, v130, v132
	v_add_f32_e32 v128, v128, v137
	v_mul_f32_e32 v137, 0xbf788fa5, v53
	v_mul_f32_e32 v53, 0x3f116cb1, v53
	s_delay_alu instid0(VALU_DEP_2) | instskip(SKIP_1) | instid1(VALU_DEP_1)
	v_fmamk_f32 v132, v52, 0xbe750f2a, v137
	v_fmac_f32_e32 v137, 0x3e750f2a, v52
	v_dual_add_f32 v137, v137, v139 :: v_dual_fmac_f32 v126, 0x3eedf032, v52
	s_delay_alu instid0(VALU_DEP_1) | instskip(SKIP_2) | instid1(VALU_DEP_3)
	v_dual_add_f32 v126, v126, v131 :: v_dual_mul_f32 v131, 0x3e750f2a, v140
	v_mul_f32_e32 v140, 0x3f52af12, v140
	v_add_f32_e32 v114, v143, v114
	v_fmamk_f32 v134, v142, 0xbf788fa5, v131
	v_fma_f32 v131, 0xbf788fa5, v142, -v131
	s_delay_alu instid0(VALU_DEP_2) | instskip(SKIP_2) | instid1(VALU_DEP_4)
	v_dual_add_f32 v134, v134, v135 :: v_dual_sub_f32 v135, v55, v57
	v_add_f32_e32 v55, v57, v55
	v_fma_f32 v57, 0x3f116cb1, v142, -v140
	v_add_f32_e32 v131, v131, v138
	s_delay_alu instid0(VALU_DEP_4) | instskip(NEXT) | instid1(VALU_DEP_3)
	v_dual_add_f32 v138, v56, v54 :: v_dual_mul_f32 v139, 0xbf29c268, v135
	v_dual_add_f32 v57, v57, v59 :: v_dual_add_f32 v132, v132, v133
	v_fmamk_f32 v133, v142, 0x3f116cb1, v140
	v_mul_f32_e32 v59, 0x3f7e222b, v135
	s_delay_alu instid0(VALU_DEP_2) | instskip(SKIP_4) | instid1(VALU_DEP_2)
	v_dual_add_f32 v133, v133, v136 :: v_dual_fmamk_f32 v136, v52, 0xbf52af12, v53
	v_fmac_f32_e32 v53, 0x3f52af12, v52
	v_sub_f32_e32 v52, v54, v56
	v_fmamk_f32 v54, v138, 0xbf3f9e67, v139
	v_mul_f32_e32 v56, 0xbf3f9e67, v55
	v_dual_add_f32 v54, v54, v58 :: v_dual_add_f32 v53, v53, v61
	v_add_f32_e32 v129, v136, v129
	s_delay_alu instid0(VALU_DEP_3) | instskip(SKIP_3) | instid1(VALU_DEP_4)
	v_fmamk_f32 v58, v52, 0x3f29c268, v56
	v_fma_f32 v61, 0xbf3f9e67, v138, -v139
	v_fmac_f32_e32 v56, 0xbf29c268, v52
	v_mul_f32_e32 v136, 0x3df6dbef, v55
	v_dual_mul_f32 v139, 0xbf788fa5, v55 :: v_dual_add_f32 v58, v58, v62
	s_delay_alu instid0(VALU_DEP_4) | instskip(NEXT) | instid1(VALU_DEP_4)
	v_add_f32_e32 v61, v61, v65
	v_dual_mul_f32 v65, 0xbf52af12, v135 :: v_dual_add_f32 v56, v56, v60
	s_delay_alu instid0(VALU_DEP_4) | instskip(SKIP_2) | instid1(VALU_DEP_3)
	v_fmamk_f32 v60, v52, 0xbf7e222b, v136
	v_fmamk_f32 v62, v138, 0x3df6dbef, v59
	v_fma_f32 v59, 0x3df6dbef, v138, -v59
	v_add_f32_e32 v60, v60, v64
	v_fmamk_f32 v64, v138, 0x3f116cb1, v65
	v_fma_f32 v65, 0x3f116cb1, v138, -v65
	s_delay_alu instid0(VALU_DEP_2) | instskip(NEXT) | instid1(VALU_DEP_2)
	v_dual_add_f32 v59, v59, v63 :: v_dual_add_f32 v64, v64, v69
	v_add_f32_e32 v65, v65, v68
	v_fmac_f32_e32 v136, 0x3f7e222b, v52
	s_delay_alu instid0(VALU_DEP_1) | instskip(SKIP_1) | instid1(VALU_DEP_1)
	v_add_f32_e32 v63, v136, v67
	v_mul_f32_e32 v67, 0x3e750f2a, v135
	v_fmamk_f32 v136, v138, 0xbf788fa5, v67
	v_fma_f32 v67, 0xbf788fa5, v138, -v67
	s_delay_alu instid0(VALU_DEP_2) | instskip(SKIP_2) | instid1(VALU_DEP_4)
	v_add_f32_e32 v68, v136, v113
	v_fmamk_f32 v113, v52, 0xbe750f2a, v139
	v_fmac_f32_e32 v139, 0x3e750f2a, v52
	v_add_f32_e32 v67, v67, v130
	s_delay_alu instid0(VALU_DEP_2) | instskip(SKIP_2) | instid1(VALU_DEP_1)
	v_dual_add_f32 v114, v139, v114 :: v_dual_add_f32 v113, v113, v127
	v_add_f32_e32 v62, v62, v66
	v_mul_f32_e32 v66, 0x3f116cb1, v55
	v_fmamk_f32 v69, v52, 0x3f52af12, v66
	s_delay_alu instid0(VALU_DEP_1) | instskip(SKIP_1) | instid1(VALU_DEP_2)
	v_dual_add_f32 v69, v69, v128 :: v_dual_mul_f32 v128, 0x3f62ad3f, v55
	v_mul_f32_e32 v55, 0xbeb58ec6, v55
	v_fmamk_f32 v130, v52, 0xbeedf032, v128
	v_fmac_f32_e32 v128, 0x3eedf032, v52
	s_delay_alu instid0(VALU_DEP_2) | instskip(NEXT) | instid1(VALU_DEP_2)
	v_add_f32_e32 v130, v130, v132
	v_add_f32_e32 v128, v128, v137
	v_dual_add_f32 v137, v51, v49 :: v_dual_fmac_f32 v66, 0xbf52af12, v52
	s_delay_alu instid0(VALU_DEP_1) | instskip(SKIP_2) | instid1(VALU_DEP_1)
	v_add_f32_e32 v66, v66, v126
	v_mul_f32_e32 v126, 0x3eedf032, v135
	v_mul_f32_e32 v135, 0xbf6f5d39, v135
	v_fmamk_f32 v132, v138, 0xbeb58ec6, v135
	s_delay_alu instid0(VALU_DEP_1) | instskip(SKIP_2) | instid1(VALU_DEP_2)
	v_add_f32_e32 v132, v132, v133
	v_fmamk_f32 v133, v52, 0x3f6f5d39, v55
	v_fmac_f32_e32 v55, 0xbf6f5d39, v52
	v_add_f32_e32 v129, v133, v129
	v_fmamk_f32 v127, v138, 0x3f62ad3f, v126
	v_fma_f32 v126, 0x3f62ad3f, v138, -v126
	s_delay_alu instid0(VALU_DEP_2) | instskip(NEXT) | instid1(VALU_DEP_2)
	v_dual_add_f32 v127, v127, v134 :: v_dual_add_f32 v134, v50, v48
	v_add_f32_e32 v126, v126, v131
	v_sub_f32_e32 v131, v49, v51
	v_fma_f32 v49, 0xbeb58ec6, v138, -v135
	v_sub_f32_e32 v135, v48, v50
	v_mul_f32_e32 v51, 0xbf788fa5, v137
	v_add_f32_e32 v138, v55, v53
	v_mul_f32_e32 v136, 0xbe750f2a, v131
	v_mul_f32_e32 v55, 0x3f62ad3f, v137
	v_add_f32_e32 v133, v49, v57
	v_fmamk_f32 v49, v135, 0x3e750f2a, v51
	v_mul_f32_e32 v53, 0x3eedf032, v131
	v_fmamk_f32 v48, v134, 0xbf788fa5, v136
	v_fmac_f32_e32 v51, 0xbe750f2a, v135
	v_mul_f32_e32 v57, 0xbf29c268, v131
	s_delay_alu instid0(VALU_DEP_4) | instskip(NEXT) | instid1(VALU_DEP_4)
	v_dual_add_f32 v49, v49, v58 :: v_dual_fmamk_f32 v52, v134, 0x3f62ad3f, v53
	v_add_f32_e32 v48, v48, v54
	v_fmamk_f32 v54, v135, 0xbeedf032, v55
	v_add_f32_e32 v51, v51, v56
	v_fma_f32 v56, 0x3f62ad3f, v134, -v53
	v_fmac_f32_e32 v55, 0x3eedf032, v135
	v_fmamk_f32 v58, v134, 0xbf3f9e67, v57
	v_add_f32_e32 v53, v54, v60
	v_fma_f32 v50, 0xbf788fa5, v134, -v136
	v_mul_f32_e32 v60, 0xbf3f9e67, v137
	v_add_f32_e32 v54, v56, v59
	v_add_f32_e32 v55, v55, v63
	v_mul_f32_e32 v63, 0x3f116cb1, v137
	v_add_f32_e32 v50, v50, v61
	v_add_f32_e32 v56, v58, v64
	v_fmamk_f32 v58, v135, 0x3f29c268, v60
	v_fma_f32 v59, 0xbf3f9e67, v134, -v57
	v_fmac_f32_e32 v60, 0xbf29c268, v135
	v_mul_f32_e32 v61, 0x3f52af12, v131
	s_delay_alu instid0(VALU_DEP_4) | instskip(NEXT) | instid1(VALU_DEP_4)
	v_dual_mul_f32 v64, 0xbf6f5d39, v131 :: v_dual_add_f32 v57, v58, v69
	v_dual_add_f32 v58, v59, v65 :: v_dual_mul_f32 v69, 0x3f7e222b, v131
	s_delay_alu instid0(VALU_DEP_4) | instskip(SKIP_4) | instid1(VALU_DEP_3)
	v_add_f32_e32 v59, v60, v66
	v_add_f32_e32 v52, v52, v62
	v_fmamk_f32 v62, v134, 0x3f116cb1, v61
	v_fma_f32 v65, 0x3f116cb1, v134, -v61
	v_fmamk_f32 v66, v134, 0xbeb58ec6, v64
	v_add_f32_e32 v60, v62, v68
	v_fmamk_f32 v62, v135, 0xbf52af12, v63
	v_fmac_f32_e32 v63, 0x3f52af12, v135
	v_mul_f32_e32 v68, 0xbeb58ec6, v137
	s_delay_alu instid0(VALU_DEP_3) | instskip(SKIP_1) | instid1(VALU_DEP_4)
	v_dual_add_f32 v61, v62, v113 :: v_dual_add_f32 v62, v65, v67
	v_fmamk_f32 v113, v134, 0x3df6dbef, v69
	v_add_f32_e32 v63, v63, v114
	v_fma_f32 v67, 0xbeb58ec6, v134, -v64
	v_mul_f32_e32 v114, 0x3df6dbef, v137
	v_dual_fmamk_f32 v65, v135, 0x3f6f5d39, v68 :: v_dual_add_f32 v64, v66, v127
	v_fmac_f32_e32 v68, 0xbf6f5d39, v135
	s_delay_alu instid0(VALU_DEP_4) | instskip(NEXT) | instid1(VALU_DEP_4)
	v_add_f32_e32 v66, v67, v126
	v_fmamk_f32 v126, v135, 0xbf7e222b, v114
	v_fma_f32 v127, 0x3df6dbef, v134, -v69
	v_dual_fmac_f32 v114, 0x3f7e222b, v135 :: v_dual_add_f32 v65, v65, v130
	v_add_f32_e32 v67, v68, v128
	s_delay_alu instid0(VALU_DEP_4) | instskip(NEXT) | instid1(VALU_DEP_3)
	v_dual_add_f32 v68, v113, v132 :: v_dual_add_f32 v69, v126, v129
	v_dual_add_f32 v113, v127, v133 :: v_dual_add_f32 v114, v114, v138
	ds_store_2addr_b64 v124, v[70:71], v[48:49] offset1:1
	ds_store_2addr_b64 v124, v[52:53], v[56:57] offset0:2 offset1:3
	ds_store_2addr_b64 v124, v[60:61], v[64:65] offset0:4 offset1:5
	;; [unrolled: 1-line block ×5, first 2 shown]
	ds_store_b64 v124, v[50:51] offset:96
	s_and_saveexec_b32 s0, vcc_lo
	s_cbranch_execz .LBB0_13
; %bb.12:
	v_dual_add_f32 v68, v112, v3 :: v_dual_add_f32 v69, v31, v33
	v_dual_sub_f32 v56, v2, v111 :: v_dual_sub_f32 v53, v32, v30
	s_delay_alu instid0(VALU_DEP_2) | instskip(NEXT) | instid1(VALU_DEP_3)
	v_dual_add_f32 v70, v29, v35 :: v_dual_mul_f32 v71, 0xbf788fa5, v68
	v_dual_mul_f32 v114, 0x3f62ad3f, v69 :: v_dual_sub_f32 v127, v3, v112
	v_dual_sub_f32 v54, v34, v28 :: v_dual_add_f32 v113, v43, v37
	s_delay_alu instid0(VALU_DEP_3) | instskip(NEXT) | instid1(VALU_DEP_4)
	v_dual_fmamk_f32 v48, v56, 0x3e750f2a, v71 :: v_dual_add_f32 v57, v111, v2
	v_dual_mul_f32 v126, 0xbf3f9e67, v70 :: v_dual_sub_f32 v135, v37, v43
	s_delay_alu instid0(VALU_DEP_4) | instskip(NEXT) | instid1(VALU_DEP_3)
	v_dual_fmamk_f32 v49, v53, 0xbeedf032, v114 :: v_dual_add_f32 v58, v30, v32
	v_dual_add_f32 v48, v1, v48 :: v_dual_mul_f32 v129, 0xbe750f2a, v127
	s_delay_alu instid0(VALU_DEP_3) | instskip(SKIP_1) | instid1(VALU_DEP_3)
	v_dual_fmamk_f32 v50, v54, 0x3f29c268, v126 :: v_dual_add_f32 v59, v28, v34
	v_sub_f32_e32 v130, v33, v31
	v_add_f32_e32 v48, v49, v48
	v_dual_sub_f32 v52, v36, v42 :: v_dual_sub_f32 v55, v38, v40
	v_dual_sub_f32 v132, v35, v29 :: v_dual_mul_f32 v137, 0x3f52af12, v135
	s_delay_alu instid0(VALU_DEP_3)
	v_dual_mul_f32 v131, 0x3eedf032, v130 :: v_dual_add_f32 v48, v50, v48
	v_dual_fmamk_f32 v50, v57, 0xbf788fa5, v129 :: v_dual_add_f32 v61, v42, v36
	v_mul_f32_e32 v128, 0x3f116cb1, v113
	v_add_f32_e32 v124, v41, v39
	v_dual_add_f32 v136, v47, v45 :: v_dual_mul_f32 v141, 0xbf3f9e67, v68
	v_mul_f32_e32 v155, 0xbf3f9e67, v69
	s_delay_alu instid0(VALU_DEP_4) | instskip(NEXT) | instid1(VALU_DEP_4)
	v_fmamk_f32 v49, v52, 0xbf52af12, v128
	v_mul_f32_e32 v133, 0xbeb58ec6, v124
	v_dual_sub_f32 v139, v39, v41 :: v_dual_mul_f32 v146, 0xbf29c268, v127
	v_mul_f32_e32 v142, 0x3df6dbef, v69
	s_delay_alu instid0(VALU_DEP_3) | instskip(SKIP_4) | instid1(VALU_DEP_3)
	v_dual_add_f32 v62, v40, v38 :: v_dual_fmamk_f32 v51, v55, 0x3f6f5d39, v133
	v_dual_add_f32 v48, v49, v48 :: v_dual_add_f32 v49, v0, v50
	v_fmamk_f32 v50, v58, 0x3f62ad3f, v131
	v_mul_f32_e32 v140, 0xbf6f5d39, v139
	v_dual_sub_f32 v60, v44, v46 :: v_dual_fmamk_f32 v65, v57, 0xbf3f9e67, v146
	v_dual_mul_f32 v138, 0x3df6dbef, v136 :: v_dual_add_f32 v49, v50, v49
	v_mul_f32_e32 v134, 0xbf29c268, v132
	s_delay_alu instid0(VALU_DEP_4)
	v_fmamk_f32 v63, v62, 0xbeb58ec6, v140
	v_sub_f32_e32 v143, v45, v47
	v_dual_add_f32 v65, v0, v65 :: v_dual_add_f32 v48, v51, v48
	v_fmamk_f32 v51, v60, 0xbf7e222b, v138
	v_fmamk_f32 v50, v59, 0xbf3f9e67, v134
	;; [unrolled: 1-line block ×3, first 2 shown]
	v_mul_f32_e32 v145, 0x3f7e222b, v143
	v_mul_f32_e32 v150, 0xbf52af12, v132
	s_delay_alu instid0(VALU_DEP_4) | instskip(SKIP_4) | instid1(VALU_DEP_4)
	v_dual_mul_f32 v144, 0x3f116cb1, v70 :: v_dual_add_f32 v49, v50, v49
	v_fmamk_f32 v50, v61, 0x3f116cb1, v137
	v_mul_f32_e32 v147, 0xbf788fa5, v113
	v_dual_mul_f32 v154, 0x3eedf032, v139 :: v_dual_mul_f32 v163, 0x3eedf032, v132
	v_mul_f32_e32 v159, 0x3df6dbef, v113
	v_dual_add_f32 v50, v50, v49 :: v_dual_add_f32 v49, v51, v48
	v_fmamk_f32 v51, v53, 0xbf7e222b, v142
	v_mul_f32_e32 v148, 0x3f7e222b, v130
	v_dual_fmamk_f32 v67, v62, 0x3f62ad3f, v154 :: v_dual_mul_f32 v156, 0x3f62ad3f, v70
	s_delay_alu instid0(VALU_DEP_4) | instskip(SKIP_4) | instid1(VALU_DEP_4)
	v_add_f32_e32 v48, v63, v50
	v_add_f32_e32 v50, v1, v64
	;; [unrolled: 1-line block ×3, first 2 shown]
	v_fmamk_f32 v66, v58, 0x3df6dbef, v148
	v_mul_f32_e32 v151, 0x3e750f2a, v135
	v_dual_mul_f32 v171, 0xbf7e222b, v127 :: v_dual_add_f32 v50, v51, v50
	v_fmamk_f32 v51, v54, 0x3f52af12, v144
	v_fmamk_f32 v64, v63, 0x3df6dbef, v145
	v_mul_f32_e32 v161, 0xbf788fa5, v124
	v_mul_f32_e32 v153, 0xbeb58ec6, v68
	s_delay_alu instid0(VALU_DEP_4) | instskip(SKIP_4) | instid1(VALU_DEP_4)
	v_dual_fmamk_f32 v173, v57, 0x3df6dbef, v171 :: v_dual_add_f32 v50, v51, v50
	v_fmamk_f32 v51, v52, 0xbe750f2a, v147
	v_mul_f32_e32 v149, 0x3f62ad3f, v124
	v_add_f32_e32 v48, v64, v48
	v_dual_add_f32 v64, v66, v65 :: v_dual_fmamk_f32 v65, v59, 0x3f116cb1, v150
	v_add_f32_e32 v50, v51, v50
	s_delay_alu instid0(VALU_DEP_4)
	v_fmamk_f32 v51, v55, 0xbeedf032, v149
	v_fmamk_f32 v164, v55, 0xbe750f2a, v161
	v_mul_f32_e32 v158, 0xbf6f5d39, v127
	v_mul_f32_e32 v152, 0xbeb58ec6, v136
	v_fmamk_f32 v66, v56, 0x3f6f5d39, v153
	v_dual_add_f32 v50, v51, v50 :: v_dual_add_f32 v51, v65, v64
	v_fmamk_f32 v64, v61, 0xbf788fa5, v151
	v_mul_f32_e32 v157, 0xbf6f5d39, v143
	v_dual_mul_f32 v160, 0x3f29c268, v130 :: v_dual_add_f32 v173, v0, v173
	v_dual_mul_f32 v174, 0xbe750f2a, v130 :: v_dual_add_f32 v3, v3, v1
	s_delay_alu instid0(VALU_DEP_4) | instskip(NEXT) | instid1(VALU_DEP_3)
	v_dual_add_f32 v64, v64, v51 :: v_dual_mul_f32 v165, 0x3df6dbef, v68
	v_dual_fmamk_f32 v162, v58, 0xbf3f9e67, v160 :: v_dual_mul_f32 v179, 0xbf3f9e67, v136
	v_dual_mul_f32 v168, 0xbf788fa5, v69 :: v_dual_mul_f32 v185, 0xbf788fa5, v70
	s_delay_alu instid0(VALU_DEP_3) | instskip(SKIP_3) | instid1(VALU_DEP_4)
	v_dual_add_f32 v64, v67, v64 :: v_dual_fmamk_f32 v67, v57, 0xbeb58ec6, v158
	v_fmamk_f32 v65, v60, 0x3f6f5d39, v152
	v_fmamk_f32 v167, v56, 0x3f7e222b, v165
	v_dual_fmamk_f32 v176, v58, 0xbf788fa5, v174 :: v_dual_add_f32 v3, v33, v3
	v_add_f32_e32 v67, v0, v67
	s_delay_alu instid0(VALU_DEP_4)
	v_add_f32_e32 v51, v65, v50
	v_add_f32_e32 v50, v1, v66
	v_fmamk_f32 v65, v53, 0xbf29c268, v155
	v_fmamk_f32 v66, v63, 0xbeb58ec6, v157
	v_mul_f32_e32 v175, 0x3f116cb1, v124
	v_mul_f32_e32 v188, 0x3df6dbef, v124
	;; [unrolled: 1-line block ×3, first 2 shown]
	v_dual_add_f32 v50, v65, v50 :: v_dual_fmamk_f32 v65, v54, 0xbeedf032, v156
	v_fmamk_f32 v182, v60, 0x3f29c268, v179
	v_mul_f32_e32 v166, 0x3e750f2a, v139
	v_mul_f32_e32 v194, 0x3f116cb1, v69
	;; [unrolled: 1-line block ×3, first 2 shown]
	v_dual_add_f32 v50, v65, v50 :: v_dual_fmamk_f32 v65, v52, 0x3f7e222b, v159
	s_delay_alu instid0(VALU_DEP_3) | instskip(SKIP_2) | instid1(VALU_DEP_4)
	v_dual_add_f32 v2, v2, v0 :: v_dual_fmamk_f32 v195, v53, 0x3f52af12, v194
	v_mul_f32_e32 v170, 0x3f52af12, v143
	v_dual_mul_f32 v178, 0x3f116cb1, v68 :: v_dual_add_f32 v3, v35, v3
	v_add_f32_e32 v65, v65, v50
	s_delay_alu instid0(VALU_DEP_4) | instskip(SKIP_1) | instid1(VALU_DEP_4)
	v_add_f32_e32 v2, v32, v2
	v_fmac_f32_e32 v142, 0x3f7e222b, v53
	v_dual_fmamk_f32 v180, v56, 0x3f52af12, v178 :: v_dual_add_f32 v3, v37, v3
	s_delay_alu instid0(VALU_DEP_4)
	v_dual_add_f32 v65, v164, v65 :: v_dual_mul_f32 v164, 0x3f116cb1, v136
	v_add_f32_e32 v50, v66, v64
	v_add_f32_e32 v64, v162, v67
	v_fmamk_f32 v66, v59, 0x3f62ad3f, v163
	v_mul_f32_e32 v162, 0xbf7e222b, v135
	v_dual_fmamk_f32 v67, v60, 0xbf52af12, v164 :: v_dual_add_f32 v2, v34, v2
	v_mul_f32_e32 v192, 0x3f29c268, v135
	v_mul_f32_e32 v70, 0x3df6dbef, v70
	s_delay_alu instid0(VALU_DEP_3)
	v_dual_fmac_f32 v138, 0x3f7e222b, v60 :: v_dual_add_f32 v65, v67, v65
	v_add_f32_e32 v67, v1, v167
	v_dual_fmamk_f32 v167, v53, 0x3e750f2a, v168 :: v_dual_add_f32 v64, v66, v64
	v_fmamk_f32 v66, v61, 0x3df6dbef, v162
	v_dual_add_f32 v180, v1, v180 :: v_dual_add_f32 v3, v39, v3
	v_dual_mul_f32 v39, 0xbf788fa5, v136 :: v_dual_add_f32 v2, v36, v2
	v_fmac_f32_e32 v71, 0xbe750f2a, v56
	s_delay_alu instid0(VALU_DEP_4) | instskip(SKIP_1) | instid1(VALU_DEP_4)
	v_add_f32_e32 v64, v66, v64
	v_fmamk_f32 v66, v62, 0xbf788fa5, v166
	v_dual_fmac_f32 v141, 0xbf29c268, v56 :: v_dual_add_f32 v2, v38, v2
	v_dual_mul_f32 v38, 0xbf6f5d39, v135 :: v_dual_fmac_f32 v153, 0xbf6f5d39, v56
	s_delay_alu instid0(VALU_DEP_3) | instskip(SKIP_1) | instid1(VALU_DEP_4)
	v_add_f32_e32 v64, v66, v64
	v_dual_add_f32 v66, v167, v67 :: v_dual_fmamk_f32 v67, v54, 0xbf6f5d39, v169
	v_dual_mul_f32 v167, 0x3f62ad3f, v113 :: v_dual_add_f32 v2, v44, v2
	v_fmac_f32_e32 v147, 0x3e750f2a, v52
	s_delay_alu instid0(VALU_DEP_3) | instskip(NEXT) | instid1(VALU_DEP_3)
	v_dual_fmac_f32 v149, 0x3eedf032, v55 :: v_dual_add_f32 v66, v67, v66
	v_dual_fmamk_f32 v67, v52, 0xbeedf032, v167 :: v_dual_add_f32 v2, v46, v2
	v_add_f32_e32 v3, v45, v3
	v_fmac_f32_e32 v155, 0x3f29c268, v53
	v_mul_f32_e32 v36, 0xbf7e222b, v132
	s_delay_alu instid0(VALU_DEP_4) | instskip(SKIP_4) | instid1(VALU_DEP_4)
	v_add_f32_e32 v66, v67, v66
	v_fmamk_f32 v67, v55, 0x3f52af12, v175
	v_fmamk_f32 v172, v63, 0x3f116cb1, v170
	v_mul_f32_e32 v177, 0x3f6f5d39, v132
	v_dual_add_f32 v3, v47, v3 :: v_dual_add_f32 v2, v40, v2
	v_add_f32_e32 v66, v67, v66
	s_delay_alu instid0(VALU_DEP_4) | instskip(NEXT) | instid1(VALU_DEP_4)
	v_add_f32_e32 v64, v172, v64
	v_dual_add_f32 v172, v176, v173 :: v_dual_fmamk_f32 v173, v59, 0xbeb58ec6, v177
	v_mul_f32_e32 v176, 0x3eedf032, v135
	v_dual_fmac_f32 v144, 0xbf52af12, v54 :: v_dual_fmac_f32 v175, 0xbf52af12, v55
	v_add_f32_e32 v37, v41, v3
	s_delay_alu instid0(VALU_DEP_4) | instskip(NEXT) | instid1(VALU_DEP_4)
	v_add_f32_e32 v67, v173, v172
	v_fmamk_f32 v172, v61, 0x3f62ad3f, v176
	v_mul_f32_e32 v173, 0xbf52af12, v139
	v_mul_f32_e32 v181, 0xbeb58ec6, v69
	;; [unrolled: 1-line block ×3, first 2 shown]
	v_dual_add_f32 v2, v42, v2 :: v_dual_fmac_f32 v159, 0xbf7e222b, v52
	s_delay_alu instid0(VALU_DEP_4)
	v_dual_add_f32 v172, v172, v67 :: v_dual_fmamk_f32 v183, v62, 0x3f116cb1, v173
	v_add_f32_e32 v67, v182, v66
	v_fmamk_f32 v182, v54, 0x3e750f2a, v185
	v_mul_f32_e32 v187, 0xbf6f5d39, v130
	v_mul_f32_e32 v130, 0xbf52af12, v130
	v_dual_add_f32 v66, v183, v172 :: v_dual_mul_f32 v183, 0xbf3f9e67, v113
	v_mul_f32_e32 v113, 0xbeb58ec6, v113
	s_delay_alu instid0(VALU_DEP_4) | instskip(NEXT) | instid1(VALU_DEP_4)
	v_fmamk_f32 v189, v58, 0xbeb58ec6, v187
	v_fmamk_f32 v34, v58, 0x3f116cb1, v130
	v_mul_f32_e32 v172, 0xbf52af12, v127
	v_mul_f32_e32 v127, 0xbeedf032, v127
	v_fmac_f32_e32 v114, 0x3eedf032, v53
	v_fmamk_f32 v33, v52, 0x3f6f5d39, v113
	v_fmac_f32_e32 v133, 0xbf6f5d39, v55
	v_fmamk_f32 v186, v57, 0x3f116cb1, v172
	v_fmamk_f32 v35, v57, 0x3f62ad3f, v127
	;; [unrolled: 1-line block ×3, first 2 shown]
	v_dual_add_f32 v42, v1, v153 :: v_dual_fmac_f32 v179, 0xbf29c268, v60
	v_mul_f32_e32 v41, 0xbf29c268, v139
	v_fmac_f32_e32 v152, 0xbf6f5d39, v60
	s_delay_alu instid0(VALU_DEP_4) | instskip(SKIP_3) | instid1(VALU_DEP_4)
	v_add_f32_e32 v180, v184, v180
	v_mul_f32_e32 v184, 0xbf29c268, v143
	v_add_f32_e32 v186, v0, v186
	v_dual_add_f32 v28, v28, v2 :: v_dual_fmac_f32 v165, 0xbf7e222b, v56
	v_add_f32_e32 v180, v182, v180
	v_fmamk_f32 v182, v52, 0xbf29c268, v183
	s_delay_alu instid0(VALU_DEP_4) | instskip(SKIP_2) | instid1(VALU_DEP_4)
	v_dual_fmamk_f32 v191, v63, 0xbf3f9e67, v184 :: v_dual_add_f32 v186, v189, v186
	v_fmamk_f32 v189, v59, 0xbf788fa5, v190
	v_fmac_f32_e32 v126, 0xbf29c268, v54
	v_add_f32_e32 v180, v182, v180
	v_fmamk_f32 v182, v55, 0xbf7e222b, v188
	v_dual_add_f32 v66, v191, v66 :: v_dual_mul_f32 v191, 0x3f62ad3f, v136
	v_fmac_f32_e32 v188, 0x3f7e222b, v55
	v_fmac_f32_e32 v156, 0x3eedf032, v54
	s_delay_alu instid0(VALU_DEP_4)
	v_add_f32_e32 v180, v182, v180
	v_mul_f32_e32 v182, 0x3f62ad3f, v68
	v_add_f32_e32 v68, v189, v186
	v_fmamk_f32 v186, v61, 0xbf3f9e67, v192
	v_mul_f32_e32 v189, 0x3f7e222b, v139
	v_fmamk_f32 v196, v60, 0xbeedf032, v191
	v_fmamk_f32 v193, v56, 0x3eedf032, v182
	s_delay_alu instid0(VALU_DEP_4) | instskip(NEXT) | instid1(VALU_DEP_4)
	v_dual_fmac_f32 v161, 0x3e750f2a, v55 :: v_dual_add_f32 v68, v186, v68
	v_fmamk_f32 v69, v62, 0x3df6dbef, v189
	s_delay_alu instid0(VALU_DEP_3) | instskip(SKIP_2) | instid1(VALU_DEP_3)
	v_dual_mul_f32 v186, 0x3eedf032, v143 :: v_dual_add_f32 v193, v1, v193
	v_fmac_f32_e32 v128, 0x3f52af12, v52
	v_fmac_f32_e32 v164, 0x3f52af12, v60
	v_dual_add_f32 v68, v69, v68 :: v_dual_fmamk_f32 v197, v63, 0x3f62ad3f, v186
	s_delay_alu instid0(VALU_DEP_4)
	v_add_f32_e32 v193, v195, v193
	v_fmamk_f32 v195, v54, 0x3f7e222b, v70
	v_add_f32_e32 v69, v196, v180
	v_add_f32_e32 v28, v30, v28
	v_fmac_f32_e32 v167, 0x3eedf032, v52
	v_fma_f32 v44, 0xbf788fa5, v58, -v174
	v_add_f32_e32 v180, v195, v193
	v_fmac_f32_e32 v181, 0xbf6f5d39, v53
	v_fma_f32 v47, 0xbeb58ec6, v58, -v187
	v_fmac_f32_e32 v168, 0xbe750f2a, v53
	v_fma_f32 v45, 0x3f116cb1, v63, -v170
	v_dual_add_f32 v32, v33, v180 :: v_dual_fmamk_f32 v33, v55, 0x3f29c268, v124
	v_fmac_f32_e32 v178, 0xbf52af12, v56
	v_fma_f32 v46, 0x3f116cb1, v62, -v173
	v_fmac_f32_e32 v169, 0x3f6f5d39, v54
	s_delay_alu instid0(VALU_DEP_4) | instskip(SKIP_4) | instid1(VALU_DEP_4)
	v_dual_fmac_f32 v185, 0xbe750f2a, v54 :: v_dual_add_f32 v32, v33, v32
	v_add_f32_e32 v33, v0, v35
	v_dual_fmamk_f32 v35, v60, 0x3e750f2a, v39 :: v_dual_add_f32 v68, v197, v68
	v_fmac_f32_e32 v39, 0xbe750f2a, v60
	v_fmac_f32_e32 v183, 0x3f29c268, v52
	v_dual_add_f32 v33, v34, v33 :: v_dual_fmamk_f32 v34, v59, 0x3df6dbef, v36
	s_delay_alu instid0(VALU_DEP_4) | instskip(SKIP_4) | instid1(VALU_DEP_1)
	v_add_f32_e32 v3, v35, v32
	v_fma_f32 v35, 0x3df6dbef, v58, -v148
	v_fmac_f32_e32 v191, 0x3eedf032, v60
	v_fmac_f32_e32 v113, 0xbf6f5d39, v52
	v_dual_add_f32 v33, v34, v33 :: v_dual_fmamk_f32 v34, v61, 0xbeb58ec6, v38
	v_add_f32_e32 v32, v34, v33
	v_dual_add_f32 v33, v43, v37 :: v_dual_fmamk_f32 v34, v62, 0xbf3f9e67, v41
	v_add_f32_e32 v43, v1, v165
	v_fma_f32 v37, 0x3f116cb1, v59, -v150
	s_delay_alu instid0(VALU_DEP_3) | instskip(NEXT) | instid1(VALU_DEP_4)
	v_add_f32_e32 v29, v29, v33
	v_dual_add_f32 v33, v1, v71 :: v_dual_add_f32 v32, v34, v32
	s_delay_alu instid0(VALU_DEP_2) | instskip(NEXT) | instid1(VALU_DEP_2)
	v_dual_fmac_f32 v182, 0xbeedf032, v56 :: v_dual_add_f32 v29, v31, v29
	v_add_f32_e32 v31, v114, v33
	v_add_f32_e32 v33, v1, v141
	s_delay_alu instid0(VALU_DEP_2) | instskip(NEXT) | instid1(VALU_DEP_2)
	v_dual_add_f32 v29, v112, v29 :: v_dual_add_f32 v30, v126, v31
	v_dual_add_f32 v33, v142, v33 :: v_dual_fmac_f32 v70, 0xbf7e222b, v54
	s_delay_alu instid0(VALU_DEP_2) | instskip(NEXT) | instid1(VALU_DEP_1)
	v_add_f32_e32 v30, v128, v30
	v_dual_add_f32 v33, v144, v33 :: v_dual_add_f32 v30, v133, v30
	s_delay_alu instid0(VALU_DEP_1) | instskip(SKIP_1) | instid1(VALU_DEP_2)
	v_add_f32_e32 v33, v147, v33
	v_fma_f32 v36, 0x3df6dbef, v59, -v36
	v_dual_add_f32 v33, v149, v33 :: v_dual_mul_f32 v40, 0xbe750f2a, v143
	s_delay_alu instid0(VALU_DEP_1) | instskip(SKIP_1) | instid1(VALU_DEP_2)
	v_dual_add_f32 v33, v152, v33 :: v_dual_fmamk_f32 v34, v63, 0xbf788fa5, v40
	v_fma_f32 v40, 0xbf788fa5, v63, -v40
	v_add_f32_e32 v2, v34, v32
	v_fma_f32 v32, 0xbf788fa5, v57, -v129
	v_fma_f32 v34, 0x3f116cb1, v61, -v137
	s_delay_alu instid0(VALU_DEP_2) | instskip(SKIP_1) | instid1(VALU_DEP_1)
	v_add_f32_e32 v31, v0, v32
	v_fma_f32 v32, 0x3f62ad3f, v58, -v131
	v_dual_fmac_f32 v194, 0xbf52af12, v53 :: v_dual_add_f32 v31, v32, v31
	v_fma_f32 v32, 0xbf3f9e67, v59, -v134
	v_fmac_f32_e32 v124, 0xbf29c268, v55
	s_delay_alu instid0(VALU_DEP_2) | instskip(SKIP_1) | instid1(VALU_DEP_2)
	v_dual_add_f32 v32, v32, v31 :: v_dual_add_f32 v31, v138, v30
	v_fma_f32 v30, 0xbf3f9e67, v57, -v146
	v_add_f32_e32 v32, v34, v32
	v_fma_f32 v34, 0xbeb58ec6, v62, -v140
	s_delay_alu instid0(VALU_DEP_3) | instskip(NEXT) | instid1(VALU_DEP_2)
	v_add_f32_e32 v30, v0, v30
	v_add_f32_e32 v32, v34, v32
	v_fma_f32 v34, 0x3df6dbef, v63, -v145
	s_delay_alu instid0(VALU_DEP_1) | instskip(NEXT) | instid1(VALU_DEP_1)
	v_dual_add_f32 v35, v35, v30 :: v_dual_add_f32 v30, v34, v32
	v_add_f32_e32 v32, v37, v35
	v_fma_f32 v34, 0xbf788fa5, v61, -v151
	v_fma_f32 v37, 0xbeb58ec6, v57, -v158
	v_add_f32_e32 v35, v155, v42
	v_fma_f32 v42, 0xbeb58ec6, v63, -v157
	s_delay_alu instid0(VALU_DEP_4) | instskip(SKIP_1) | instid1(VALU_DEP_1)
	v_add_f32_e32 v32, v34, v32
	v_fma_f32 v34, 0x3f62ad3f, v62, -v154
	v_dual_add_f32 v35, v156, v35 :: v_dual_add_f32 v32, v34, v32
	v_add_f32_e32 v34, v0, v37
	v_fma_f32 v37, 0xbf3f9e67, v58, -v160
	s_delay_alu instid0(VALU_DEP_3) | instskip(SKIP_1) | instid1(VALU_DEP_3)
	v_dual_add_f32 v35, v159, v35 :: v_dual_add_f32 v32, v42, v32
	v_add_f32_e32 v42, v168, v43
	v_add_f32_e32 v34, v37, v34
	v_fma_f32 v37, 0x3f62ad3f, v59, -v163
	v_fma_f32 v43, 0xbf788fa5, v62, -v166
	v_add_f32_e32 v35, v161, v35
	s_delay_alu instid0(VALU_DEP_3) | instskip(SKIP_1) | instid1(VALU_DEP_1)
	v_add_f32_e32 v34, v37, v34
	v_fma_f32 v37, 0x3df6dbef, v61, -v162
	v_add_f32_e32 v34, v37, v34
	v_fma_f32 v37, 0x3df6dbef, v57, -v171
	s_delay_alu instid0(VALU_DEP_2) | instskip(SKIP_1) | instid1(VALU_DEP_3)
	v_add_f32_e32 v34, v43, v34
	v_add_f32_e32 v43, v1, v178
	;; [unrolled: 1-line block ×4, first 2 shown]
	s_delay_alu instid0(VALU_DEP_4)
	v_add_f32_e32 v34, v45, v34
	v_fma_f32 v45, 0x3f116cb1, v57, -v172
	v_add_f32_e32 v43, v181, v43
	v_add_f32_e32 v37, v44, v37
	v_fma_f32 v44, 0xbeb58ec6, v59, -v177
	v_add_f32_e32 v1, v194, v1
	v_add_f32_e32 v45, v0, v45
	;; [unrolled: 1-line block ×3, first 2 shown]
	s_delay_alu instid0(VALU_DEP_4) | instskip(SKIP_1) | instid1(VALU_DEP_4)
	v_add_f32_e32 v37, v44, v37
	v_fma_f32 v44, 0x3f62ad3f, v61, -v176
	v_add_f32_e32 v45, v47, v45
	v_fma_f32 v47, 0xbf788fa5, v59, -v190
	v_add_f32_e32 v43, v183, v43
	v_add_f32_e32 v1, v70, v1
	;; [unrolled: 1-line block ×3, first 2 shown]
	s_delay_alu instid0(VALU_DEP_4) | instskip(SKIP_2) | instid1(VALU_DEP_1)
	v_add_f32_e32 v45, v47, v45
	v_dual_add_f32 v35, v164, v35 :: v_dual_add_f32 v28, v111, v28
	v_dual_add_f32 v43, v188, v43 :: v_dual_add_f32 v42, v169, v42
	;; [unrolled: 1-line block ×3, first 2 shown]
	s_delay_alu instid0(VALU_DEP_1) | instskip(NEXT) | instid1(VALU_DEP_1)
	v_add_f32_e32 v42, v175, v42
	v_dual_add_f32 v37, v179, v42 :: v_dual_add_f32 v42, v46, v44
	v_fma_f32 v46, 0x3f62ad3f, v57, -v127
	v_fma_f32 v44, 0xbf3f9e67, v63, -v184
	s_delay_alu instid0(VALU_DEP_2) | instskip(SKIP_1) | instid1(VALU_DEP_1)
	v_add_f32_e32 v0, v0, v46
	v_fma_f32 v46, 0x3f116cb1, v58, -v130
	v_add_f32_e32 v0, v46, v0
	v_fma_f32 v46, 0xbf3f9e67, v61, -v192
	s_delay_alu instid0(VALU_DEP_2) | instskip(SKIP_1) | instid1(VALU_DEP_3)
	v_add_f32_e32 v0, v36, v0
	v_fma_f32 v36, 0xbeb58ec6, v61, -v38
	v_add_f32_e32 v38, v46, v45
	v_fma_f32 v45, 0x3df6dbef, v62, -v189
	s_delay_alu instid0(VALU_DEP_3) | instskip(SKIP_1) | instid1(VALU_DEP_3)
	v_add_f32_e32 v0, v36, v0
	v_fma_f32 v36, 0xbf3f9e67, v62, -v41
	v_add_f32_e32 v38, v45, v38
	v_fma_f32 v41, 0x3f62ad3f, v63, -v186
	v_add_f32_e32 v45, v124, v1
	s_delay_alu instid0(VALU_DEP_4) | instskip(SKIP_1) | instid1(VALU_DEP_3)
	v_dual_add_f32 v1, v191, v43 :: v_dual_add_f32 v46, v36, v0
	v_add_f32_e32 v36, v44, v42
	v_dual_add_f32 v0, v41, v38 :: v_dual_add_f32 v39, v39, v45
	s_delay_alu instid0(VALU_DEP_3)
	v_add_f32_e32 v38, v40, v46
	ds_store_2addr_b64 v115, v[28:29], v[2:3] offset0:169 offset1:170
	ds_store_2addr_b64 v115, v[68:69], v[66:67] offset0:171 offset1:172
	;; [unrolled: 1-line block ×6, first 2 shown]
	ds_store_b64 v115, v[38:39] offset:1448
.LBB0_13:
	s_wait_alu 0xfffe
	s_or_b32 exec_lo, exec_lo, s0
	global_wb scope:SCOPE_SE
	s_wait_dscnt 0x0
	s_barrier_signal -1
	s_barrier_wait -1
	global_inv scope:SCOPE_SE
	ds_load_2addr_b64 v[0:3], v118 offset0:78 offset1:91
	ds_load_2addr_b64 v[28:31], v118 offset0:104 offset1:117
	ds_load_2addr_b64 v[32:35], v118 offset0:130 offset1:143
	ds_load_2addr_b64 v[36:39], v118 offset1:13
	ds_load_2addr_b64 v[40:43], v118 offset0:26 offset1:39
	ds_load_2addr_b64 v[44:47], v118 offset0:156 offset1:169
	;; [unrolled: 1-line block ×3, first 2 shown]
	global_wb scope:SCOPE_SE
	s_wait_dscnt 0x0
	s_barrier_signal -1
	s_barrier_wait -1
	global_inv scope:SCOPE_SE
	s_mov_b32 s8, 0x16816817
	s_mov_b32 s9, 0x3f768168
	v_mul_f32_e32 v52, v102, v3
	v_dual_mul_f32 v53, v102, v2 :: v_dual_mul_f32 v58, v108, v33
	v_mul_f32_e32 v59, v108, v32
	s_delay_alu instid0(VALU_DEP_3) | instskip(SKIP_1) | instid1(VALU_DEP_4)
	v_dual_mul_f32 v55, v102, v28 :: v_dual_fmac_f32 v52, v101, v2
	v_mul_f32_e32 v54, v102, v29
	v_fmac_f32_e32 v58, v107, v32
	v_mul_f32_e32 v56, v110, v31
	s_delay_alu instid0(VALU_DEP_4) | instskip(SKIP_2) | instid1(VALU_DEP_3)
	v_fma_f32 v29, v101, v29, -v55
	v_mul_f32_e32 v55, v106, v35
	v_fma_f32 v3, v101, v3, -v53
	v_dual_mul_f32 v2, v106, v34 :: v_dual_sub_f32 v29, v39, v29
	s_delay_alu instid0(VALU_DEP_3) | instskip(NEXT) | instid1(VALU_DEP_3)
	v_fmac_f32_e32 v55, v105, v34
	v_sub_f32_e32 v3, v37, v3
	v_dual_mul_f32 v57, v110, v30 :: v_dual_fmac_f32 v54, v101, v28
	v_mul_f32_e32 v28, v104, v44
	v_fma_f32 v61, v105, v35, -v2
	s_delay_alu instid0(VALU_DEP_3) | instskip(SKIP_2) | instid1(VALU_DEP_3)
	v_fma_f32 v53, v109, v31, -v57
	v_fma_f32 v57, v107, v33, -v59
	v_dual_mul_f32 v59, v104, v45 :: v_dual_fmac_f32 v56, v109, v30
	v_dual_mul_f32 v60, v100, v47 :: v_dual_sub_f32 v35, v41, v53
	v_mul_f32_e32 v30, v100, v46
	v_fma_f32 v45, v103, v45, -v28
	v_sub_f32_e32 v2, v36, v52
	v_fmac_f32_e32 v59, v103, v44
	v_fmac_f32_e32 v60, v99, v46
	v_sub_f32_e32 v28, v38, v54
	v_fma_f32 v31, v37, 2.0, -v3
	v_sub_f32_e32 v37, v43, v57
	v_fma_f32 v54, v99, v47, -v30
	v_dual_sub_f32 v34, v40, v56 :: v_dual_sub_f32 v47, v51, v45
	v_fma_f32 v30, v36, 2.0, -v2
	v_sub_f32_e32 v36, v42, v58
	v_fma_f32 v32, v38, 2.0, -v28
	v_fma_f32 v33, v39, 2.0, -v29
	;; [unrolled: 1-line block ×3, first 2 shown]
	v_dual_sub_f32 v41, v49, v61 :: v_dual_sub_f32 v52, v0, v60
	v_sub_f32_e32 v53, v1, v54
	v_fma_f32 v38, v40, 2.0, -v34
	v_sub_f32_e32 v40, v48, v55
	v_sub_f32_e32 v46, v50, v59
	v_fma_f32 v42, v42, 2.0, -v36
	v_fma_f32 v43, v43, 2.0, -v37
	v_fma_f32 v45, v49, 2.0, -v41
	v_fma_f32 v44, v48, 2.0, -v40
	v_fma_f32 v0, v0, 2.0, -v52
	v_fma_f32 v1, v1, 2.0, -v53
	v_fma_f32 v48, v50, 2.0, -v46
	v_fma_f32 v49, v51, 2.0, -v47
	ds_store_2addr_b64 v118, v[30:31], v[2:3] offset1:13
	ds_store_2addr_b64 v118, v[32:33], v[28:29] offset0:26 offset1:39
	ds_store_2addr_b64 v121, v[38:39], v[34:35] offset0:52 offset1:65
	ds_store_2addr_b64 v122, v[42:43], v[36:37] offset0:78 offset1:91
	ds_store_2addr_b64 v123, v[44:45], v[40:41] offset0:104 offset1:117
	ds_store_2addr_b64 v120, v[48:49], v[46:47] offset0:130 offset1:143
	ds_store_2addr_b64 v119, v[0:1], v[52:53] offset0:156 offset1:169
	global_wb scope:SCOPE_SE
	s_wait_dscnt 0x0
	s_barrier_signal -1
	s_barrier_wait -1
	global_inv scope:SCOPE_SE
	ds_load_2addr_b64 v[0:3], v118 offset0:26 offset1:39
	ds_load_2addr_b64 v[28:31], v118 offset0:52 offset1:65
	ds_load_2addr_b64 v[32:35], v118 offset0:78 offset1:91
	ds_load_2addr_b64 v[36:39], v118 offset0:104 offset1:117
	ds_load_2addr_b64 v[40:43], v118 offset0:130 offset1:143
	ds_load_2addr_b64 v[44:47], v118 offset0:156 offset1:169
	ds_load_2addr_b64 v[48:51], v118 offset1:13
	s_wait_dscnt 0x5
	v_mul_f32_e32 v53, v27, v29
	v_mul_f32_e32 v52, v25, v1
	;; [unrolled: 1-line block ×4, first 2 shown]
	s_delay_alu instid0(VALU_DEP_4) | instskip(NEXT) | instid1(VALU_DEP_4)
	v_fmac_f32_e32 v53, v26, v28
	v_fmac_f32_e32 v52, v24, v0
	s_delay_alu instid0(VALU_DEP_4)
	v_fma_f32 v0, v24, v1, -v25
	s_wait_dscnt 0x4
	v_mul_f32_e32 v24, v17, v33
	v_mul_f32_e32 v17, v17, v32
	s_wait_dscnt 0x3
	v_mul_f32_e32 v25, v19, v37
	v_mul_f32_e32 v19, v19, v36
	v_fma_f32 v1, v26, v29, -v27
	s_wait_dscnt 0x2
	v_mul_f32_e32 v26, v5, v41
	v_fmac_f32_e32 v24, v16, v32
	v_fma_f32 v16, v16, v33, -v17
	v_fmac_f32_e32 v25, v18, v36
	v_fma_f32 v17, v18, v37, -v19
	s_wait_dscnt 0x1
	v_dual_mul_f32 v5, v5, v40 :: v_dual_mul_f32 v18, v7, v45
	v_mul_f32_e32 v19, v21, v3
	v_dual_mul_f32 v21, v21, v2 :: v_dual_fmac_f32 v26, v4, v40
	s_delay_alu instid0(VALU_DEP_3) | instskip(NEXT) | instid1(VALU_DEP_3)
	v_fma_f32 v4, v4, v41, -v5
	v_dual_fmac_f32 v18, v6, v44 :: v_dual_fmac_f32 v19, v20, v2
	s_delay_alu instid0(VALU_DEP_3) | instskip(SKIP_4) | instid1(VALU_DEP_4)
	v_fma_f32 v20, v20, v3, -v21
	v_mul_f32_e32 v21, v23, v31
	v_dual_mul_f32 v2, v23, v30 :: v_dual_mul_f32 v23, v13, v35
	v_mul_f32_e32 v7, v7, v44
	v_mul_f32_e32 v27, v15, v39
	v_fmac_f32_e32 v21, v22, v30
	s_delay_alu instid0(VALU_DEP_4) | instskip(SKIP_1) | instid1(VALU_DEP_4)
	v_fma_f32 v22, v22, v31, -v2
	v_dual_mul_f32 v2, v15, v38 :: v_dual_mul_f32 v15, v9, v43
	v_fmac_f32_e32 v27, v14, v38
	v_mul_f32_e32 v29, v11, v47
	v_fmac_f32_e32 v23, v12, v34
	s_delay_alu instid0(VALU_DEP_4)
	v_fma_f32 v14, v14, v39, -v2
	v_add_f32_e32 v2, v52, v18
	v_fma_f32 v5, v6, v45, -v7
	v_mul_f32_e32 v3, v13, v34
	v_dual_mul_f32 v6, v11, v46 :: v_dual_add_f32 v7, v1, v4
	v_dual_sub_f32 v1, v1, v4 :: v_dual_add_f32 v4, v24, v25
	s_delay_alu instid0(VALU_DEP_3) | instskip(SKIP_2) | instid1(VALU_DEP_2)
	v_fma_f32 v28, v12, v35, -v3
	v_mul_f32_e32 v3, v9, v42
	v_fmac_f32_e32 v15, v8, v42
	v_fma_f32 v30, v8, v43, -v3
	v_add_f32_e32 v3, v0, v5
	v_fma_f32 v31, v10, v47, -v6
	v_sub_f32_e32 v6, v52, v18
	v_dual_sub_f32 v0, v0, v5 :: v_dual_add_f32 v5, v53, v26
	v_sub_f32_e32 v8, v53, v26
	v_sub_f32_e32 v11, v17, v16
	v_dual_fmac_f32 v29, v10, v46 :: v_dual_sub_f32 v10, v25, v24
	s_delay_alu instid0(VALU_DEP_4) | instskip(SKIP_2) | instid1(VALU_DEP_4)
	v_dual_add_f32 v9, v16, v17 :: v_dual_add_f32 v12, v5, v2
	v_sub_f32_e32 v16, v5, v2
	v_sub_f32_e32 v2, v2, v4
	v_add_f32_e32 v18, v10, v8
	v_sub_f32_e32 v25, v10, v8
	v_dual_sub_f32 v10, v6, v10 :: v_dual_add_f32 v13, v7, v3
	s_delay_alu instid0(VALU_DEP_4) | instskip(SKIP_3) | instid1(VALU_DEP_3)
	v_dual_sub_f32 v5, v4, v5 :: v_dual_mul_f32 v2, 0x3f4a47b2, v2
	v_dual_sub_f32 v8, v8, v6 :: v_dual_sub_f32 v17, v7, v3
	v_dual_sub_f32 v7, v9, v7 :: v_dual_add_f32 v4, v4, v12
	v_sub_f32_e32 v3, v3, v9
	v_dual_add_f32 v9, v9, v13 :: v_dual_mul_f32 v32, 0xbf5ff5aa, v8
	v_add_f32_e32 v6, v18, v6
	v_add_f32_e32 v24, v11, v1
	v_dual_sub_f32 v26, v11, v1 :: v_dual_sub_f32 v11, v0, v11
	v_sub_f32_e32 v12, v1, v0
	s_delay_alu instid0(VALU_DEP_3)
	v_dual_mul_f32 v18, 0x3d64c772, v5 :: v_dual_add_f32 v13, v24, v0
	s_wait_dscnt 0x0
	v_dual_add_f32 v0, v48, v4 :: v_dual_add_f32 v1, v49, v9
	v_mul_f32_e32 v24, 0x3d64c772, v7
	v_mul_f32_e32 v26, 0x3f08b237, v26
	v_fma_f32 v18, 0x3f3bfb3b, v16, -v18
	s_delay_alu instid0(VALU_DEP_4) | instskip(NEXT) | instid1(VALU_DEP_4)
	v_dual_fmamk_f32 v4, v4, 0xbf955555, v0 :: v_dual_fmamk_f32 v9, v9, 0xbf955555, v1
	v_fma_f32 v24, 0x3f3bfb3b, v17, -v24
	v_fmamk_f32 v5, v5, 0x3d64c772, v2
	v_mul_f32_e32 v3, 0x3f4a47b2, v3
	v_fma_f32 v2, 0xbf3bfb3b, v16, -v2
	v_mul_f32_e32 v25, 0x3f08b237, v25
	s_delay_alu instid0(VALU_DEP_3) | instskip(SKIP_1) | instid1(VALU_DEP_3)
	v_fmamk_f32 v7, v7, 0x3d64c772, v3
	v_mul_f32_e32 v33, 0xbf5ff5aa, v12
	v_fmamk_f32 v16, v10, 0xbeae86e6, v25
	v_fma_f32 v25, 0xbf5ff5aa, v8, -v25
	v_fma_f32 v8, 0xbf5ff5aa, v12, -v26
	v_fma_f32 v12, 0x3eae86e6, v10, -v32
	v_add_f32_e32 v32, v7, v9
	v_fma_f32 v10, 0x3eae86e6, v11, -v33
	v_fma_f32 v3, 0xbf3bfb3b, v17, -v3
	v_fmac_f32_e32 v16, 0xbee1c552, v6
	v_dual_fmac_f32 v25, 0xbee1c552, v6 :: v_dual_fmac_f32 v8, 0xbee1c552, v13
	v_fmamk_f32 v17, v11, 0xbeae86e6, v26
	v_dual_add_f32 v11, v18, v4 :: v_dual_add_f32 v18, v24, v9
	v_add_f32_e32 v24, v2, v4
	v_fmac_f32_e32 v10, 0xbee1c552, v13
	v_add_f32_e32 v26, v5, v4
	v_fmac_f32_e32 v12, 0xbee1c552, v6
	s_delay_alu instid0(VALU_DEP_3) | instskip(SKIP_4) | instid1(VALU_DEP_4)
	v_dual_add_f32 v7, v25, v18 :: v_dual_add_f32 v4, v10, v24
	v_add_f32_e32 v33, v3, v9
	v_sub_f32_e32 v3, v32, v16
	v_sub_f32_e32 v6, v11, v8
	v_dual_add_f32 v8, v8, v11 :: v_dual_fmac_f32 v17, 0xbee1c552, v13
	v_dual_sub_f32 v10, v24, v10 :: v_dual_sub_f32 v5, v33, v12
	v_sub_f32_e32 v9, v18, v25
	v_dual_add_f32 v11, v12, v33 :: v_dual_add_f32 v24, v22, v30
	s_delay_alu instid0(VALU_DEP_4)
	v_add_f32_e32 v2, v17, v26
	v_dual_sub_f32 v12, v26, v17 :: v_dual_add_f32 v13, v16, v32
	v_dual_add_f32 v16, v19, v29 :: v_dual_add_f32 v17, v20, v31
	v_dual_sub_f32 v18, v19, v29 :: v_dual_sub_f32 v19, v20, v31
	v_add_f32_e32 v20, v21, v15
	v_sub_f32_e32 v15, v21, v15
	v_dual_sub_f32 v21, v22, v30 :: v_dual_add_f32 v22, v23, v27
	v_add_f32_e32 v25, v28, v14
	v_dual_sub_f32 v23, v27, v23 :: v_dual_sub_f32 v14, v14, v28
	v_sub_f32_e32 v28, v20, v16
	v_add_f32_e32 v26, v20, v16
	v_dual_sub_f32 v20, v22, v20 :: v_dual_add_f32 v27, v24, v17
	s_delay_alu instid0(VALU_DEP_4)
	v_dual_sub_f32 v29, v24, v17 :: v_dual_add_f32 v30, v23, v15
	v_dual_sub_f32 v16, v16, v22 :: v_dual_sub_f32 v17, v17, v25
	v_dual_sub_f32 v24, v25, v24 :: v_dual_add_f32 v31, v14, v21
	v_sub_f32_e32 v32, v23, v15
	v_dual_add_f32 v22, v22, v26 :: v_dual_add_f32 v25, v25, v27
	v_dual_sub_f32 v33, v14, v21 :: v_dual_sub_f32 v34, v19, v14
	v_dual_sub_f32 v23, v18, v23 :: v_dual_mul_f32 v16, 0x3f4a47b2, v16
	v_dual_sub_f32 v35, v15, v18 :: v_dual_mul_f32 v26, 0x3d64c772, v20
	v_dual_sub_f32 v21, v21, v19 :: v_dual_add_f32 v18, v30, v18
	v_dual_add_f32 v19, v31, v19 :: v_dual_add_f32 v14, v50, v22
	v_dual_add_f32 v15, v51, v25 :: v_dual_mul_f32 v30, 0x3f08b237, v32
	v_dual_mul_f32 v27, 0x3d64c772, v24 :: v_dual_fmamk_f32 v20, v20, 0x3d64c772, v16
	v_mul_f32_e32 v32, 0xbf5ff5aa, v35
	s_delay_alu instid0(VALU_DEP_3)
	v_dual_fmamk_f32 v22, v22, 0xbf955555, v14 :: v_dual_fmamk_f32 v25, v25, 0xbf955555, v15
	v_mul_f32_e32 v17, 0x3f4a47b2, v17
	v_fma_f32 v26, 0x3f3bfb3b, v28, -v26
	v_fma_f32 v16, 0xbf3bfb3b, v28, -v16
	v_mul_f32_e32 v31, 0x3f08b237, v33
	v_mul_f32_e32 v33, 0xbf5ff5aa, v21
	v_fmamk_f32 v24, v24, 0x3d64c772, v17
	v_fma_f32 v27, 0x3f3bfb3b, v29, -v27
	v_fma_f32 v17, 0xbf3bfb3b, v29, -v17
	v_fmamk_f32 v28, v23, 0xbeae86e6, v30
	v_fma_f32 v32, 0x3eae86e6, v23, -v32
	v_fma_f32 v33, 0x3eae86e6, v34, -v33
	v_add_f32_e32 v23, v26, v22
	v_dual_add_f32 v26, v16, v22 :: v_dual_fmamk_f32 v29, v34, 0xbeae86e6, v31
	v_fma_f32 v30, 0xbf5ff5aa, v35, -v30
	v_fma_f32 v31, 0xbf5ff5aa, v21, -v31
	v_add_f32_e32 v34, v20, v22
	v_dual_add_f32 v35, v24, v25 :: v_dual_fmac_f32 v28, 0xbee1c552, v18
	v_dual_add_f32 v24, v27, v25 :: v_dual_fmac_f32 v29, 0xbee1c552, v19
	;; [unrolled: 1-line block ×3, first 2 shown]
	v_dual_fmac_f32 v33, 0xbee1c552, v19 :: v_dual_fmac_f32 v32, 0xbee1c552, v18
	s_delay_alu instid0(VALU_DEP_3) | instskip(NEXT) | instid1(VALU_DEP_2)
	v_dual_fmac_f32 v31, 0xbee1c552, v19 :: v_dual_add_f32 v16, v29, v34
	v_dual_sub_f32 v17, v35, v28 :: v_dual_add_f32 v18, v33, v26
	s_delay_alu instid0(VALU_DEP_2)
	v_dual_sub_f32 v19, v25, v32 :: v_dual_sub_f32 v20, v23, v31
	v_dual_add_f32 v21, v30, v24 :: v_dual_add_f32 v22, v31, v23
	v_dual_sub_f32 v23, v24, v30 :: v_dual_sub_f32 v24, v26, v33
	v_add_f32_e32 v25, v32, v25
	v_dual_sub_f32 v26, v34, v29 :: v_dual_add_f32 v27, v28, v35
	ds_store_2addr_b64 v118, v[2:3], v[4:5] offset0:26 offset1:52
	ds_store_2addr_b64 v118, v[6:7], v[8:9] offset0:78 offset1:104
	;; [unrolled: 1-line block ×3, first 2 shown]
	ds_store_2addr_b64 v118, v[0:1], v[14:15] offset1:13
	ds_store_2addr_b64 v125, v[16:17], v[18:19] offset0:26 offset1:52
	ds_store_2addr_b64 v125, v[20:21], v[22:23] offset0:78 offset1:104
	;; [unrolled: 1-line block ×3, first 2 shown]
	global_wb scope:SCOPE_SE
	s_wait_dscnt 0x0
	s_barrier_signal -1
	s_barrier_wait -1
	global_inv scope:SCOPE_SE
	ds_load_2addr_b64 v[0:3], v118 offset1:14
	ds_load_2addr_b64 v[8:11], v118 offset0:56 offset1:70
	v_mad_co_u64_u32 v[24:25], null, s4, v117, 0
	v_mad_co_u64_u32 v[14:15], null, s6, v74, 0
	s_wait_dscnt 0x1
	v_dual_mul_f32 v5, v98, v0 :: v_dual_mul_f32 v16, v96, v3
	v_dual_mul_f32 v4, v98, v1 :: v_dual_mul_f32 v17, v96, v2
	s_delay_alu instid0(VALU_DEP_2) | instskip(NEXT) | instid1(VALU_DEP_3)
	v_fma_f32 v5, v97, v1, -v5
	v_fmac_f32_e32 v16, v95, v2
	s_delay_alu instid0(VALU_DEP_3) | instskip(NEXT) | instid1(VALU_DEP_4)
	v_fmac_f32_e32 v4, v97, v0
	v_fma_f32 v17, v95, v3, -v17
	s_delay_alu instid0(VALU_DEP_4) | instskip(NEXT) | instid1(VALU_DEP_3)
	v_cvt_f64_f32_e32 v[12:13], v5
	v_cvt_f64_f32_e32 v[0:1], v4
	ds_load_2addr_b64 v[4:7], v118 offset0:28 offset1:42
	s_wait_dscnt 0x0
	v_mul_f32_e32 v18, v94, v5
	v_mul_f32_e32 v20, v90, v7
	s_delay_alu instid0(VALU_DEP_2) | instskip(SKIP_1) | instid1(VALU_DEP_3)
	v_dual_mul_f32 v21, v90, v6 :: v_dual_fmac_f32 v18, v93, v4
	v_mul_f32_e32 v4, v94, v4
	v_fmac_f32_e32 v20, v89, v6
	s_delay_alu instid0(VALU_DEP_3) | instskip(NEXT) | instid1(VALU_DEP_4)
	v_fma_f32 v23, v89, v7, -v21
	v_cvt_f64_f32_e32 v[18:19], v18
	s_delay_alu instid0(VALU_DEP_4)
	v_fma_f32 v4, v93, v5, -v4
	v_mul_f32_e32 v5, v92, v8
	s_wait_alu 0xfffe
	v_mul_f64_e32 v[2:3], s[8:9], v[12:13]
	v_cvt_f64_f32_e32 v[12:13], v16
	v_cvt_f64_f32_e32 v[16:17], v17
	;; [unrolled: 1-line block ×3, first 2 shown]
	v_fma_f32 v4, v91, v9, -v5
	v_mul_f64_e32 v[0:1], s[8:9], v[0:1]
	s_delay_alu instid0(VALU_DEP_2)
	v_cvt_f64_f32_e32 v[26:27], v4
	v_mul_f64_e32 v[18:19], s[8:9], v[18:19]
	v_cvt_f32_f64_e32 v29, v[2:3]
	v_mul_f64_e32 v[30:31], s[8:9], v[12:13]
	v_mad_co_u64_u32 v[4:5], null, s7, v74, v[15:16]
	v_dual_mov_b32 v5, v25 :: v_dual_mul_f32 v12, v88, v11
	v_cvt_f32_f64_e32 v28, v[0:1]
	v_mul_f64_e32 v[32:33], s[8:9], v[6:7]
	v_mul_f64_e32 v[16:17], s[8:9], v[16:17]
	v_mul_f64_e32 v[26:27], s[8:9], v[26:27]
	v_mov_b32_e32 v15, v4
	v_mad_co_u64_u32 v[4:5], null, s5, v117, v[5:6]
	s_mul_u64 s[6:7], s[4:5], 0x70
	s_delay_alu instid0(VALU_DEP_2) | instskip(NEXT) | instid1(VALU_DEP_2)
	v_lshlrev_b64_e32 v[14:15], 3, v[14:15]
	v_mov_b32_e32 v25, v4
	ds_load_2addr_b64 v[2:5], v118 offset0:84 offset1:98
	v_mul_f32_e32 v22, v92, v9
	v_fmac_f32_e32 v12, v87, v10
	v_mul_f32_e32 v10, v88, v10
	v_add_co_u32 v0, s0, s10, v14
	s_wait_alu 0xf1ff
	v_add_co_ci_u32_e64 v1, s0, s11, v15, s0
	s_delay_alu instid0(VALU_DEP_3) | instskip(SKIP_3) | instid1(VALU_DEP_2)
	v_fma_f32 v10, v87, v11, -v10
	v_cvt_f64_f32_e32 v[20:21], v20
	v_lshlrev_b64_e32 v[24:25], 3, v[24:25]
	v_cvt_f32_f64_e32 v18, v[18:19]
	v_add_co_u32 v24, s0, v0, v24
	s_wait_alu 0xf1ff
	s_delay_alu instid0(VALU_DEP_3)
	v_add_co_ci_u32_e64 v25, s0, v1, v25, s0
	s_wait_dscnt 0x0
	v_mul_f32_e32 v39, v86, v2
	v_mul_f32_e32 v11, v84, v4
	v_cvt_f64_f32_e32 v[36:37], v12
	ds_load_2addr_b64 v[12:15], v118 offset0:140 offset1:154
	v_fmac_f32_e32 v22, v91, v8
	v_cvt_f64_f32_e32 v[8:9], v23
	v_mul_f32_e32 v38, v86, v3
	v_mul_f32_e32 v40, v84, v5
	v_fma_f32 v39, v85, v3, -v39
	v_fma_f32 v42, v83, v5, -v11
	v_cvt_f32_f64_e32 v30, v[30:31]
	v_fmac_f32_e32 v38, v85, v2
	v_fmac_f32_e32 v40, v83, v4
	v_cvt_f64_f32_e32 v[2:3], v10
	v_cvt_f64_f32_e32 v[10:11], v39
	;; [unrolled: 1-line block ×5, first 2 shown]
	ds_load_b64 v[40:41], v118 offset:1344
	v_cvt_f32_f64_e32 v31, v[16:17]
	v_cvt_f32_f64_e32 v19, v[32:33]
	global_store_b64 v[24:25], v[28:29], off
	s_wait_dscnt 0x1
	v_mul_f32_e32 v51, v80, v14
	v_cvt_f64_f32_e32 v[22:23], v22
	v_mul_f32_e32 v48, v76, v13
	v_mul_f32_e32 v50, v80, v15
	v_mul_f64_e32 v[20:21], s[8:9], v[20:21]
	v_fma_f32 v51, v79, v15, -v51
	s_delay_alu instid0(VALU_DEP_4) | instskip(SKIP_2) | instid1(VALU_DEP_3)
	v_fmac_f32_e32 v48, v75, v12
	v_mul_f32_e32 v12, v76, v12
	v_fmac_f32_e32 v50, v79, v14
	v_cvt_f64_f32_e32 v[48:49], v48
	s_delay_alu instid0(VALU_DEP_3) | instskip(NEXT) | instid1(VALU_DEP_3)
	v_fma_f32 v12, v75, v13, -v12
	v_cvt_f64_f32_e32 v[14:15], v50
	s_wait_dscnt 0x0
	v_mul_f32_e32 v52, v82, v41
	v_mul_f32_e32 v53, v82, v40
	v_mul_f64_e32 v[16:17], s[8:9], v[36:37]
	v_cvt_f64_f32_e32 v[12:13], v12
	s_wait_alu 0xfffe
	v_add_co_u32 v36, s0, v24, s6
	v_mul_f64_e32 v[34:35], s[8:9], v[8:9]
	ds_load_2addr_b64 v[6:9], v118 offset0:112 offset1:126
	v_fmac_f32_e32 v52, v81, v40
	v_fma_f32 v53, v81, v41, -v53
	v_cvt_f64_f32_e32 v[40:41], v51
	s_wait_alu 0xf1ff
	v_add_co_ci_u32_e64 v37, s0, s7, v25, s0
	v_cvt_f64_f32_e32 v[50:51], v52
	v_cvt_f64_f32_e32 v[52:53], v53
	v_mul_f64_e32 v[10:11], s[8:9], v[10:11]
	v_mul_f64_e32 v[4:5], s[8:9], v[4:5]
	;; [unrolled: 1-line block ×5, first 2 shown]
	v_add_co_u32 v32, s0, v36, s6
	s_wait_alu 0xf1ff
	v_add_co_ci_u32_e64 v33, s0, s7, v37, s0
	v_mul_f64_e32 v[22:23], s[8:9], v[22:23]
	s_clause 0x1
	global_store_b64 v[36:37], v[30:31], off
	global_store_b64 v[32:33], v[18:19], off
	s_wait_dscnt 0x0
	v_mul_f32_e32 v44, v73, v7
	v_dual_mul_f32 v45, v73, v6 :: v_dual_mul_f32 v46, v78, v9
	v_mul_f32_e32 v47, v78, v8
	v_cvt_f32_f64_e32 v20, v[20:21]
	s_delay_alu instid0(VALU_DEP_4) | instskip(NEXT) | instid1(VALU_DEP_4)
	v_fmac_f32_e32 v44, v72, v6
	v_fma_f32 v45, v72, v7, -v45
	v_fmac_f32_e32 v46, v77, v8
	v_fma_f32 v47, v77, v9, -v47
	s_delay_alu instid0(VALU_DEP_4) | instskip(NEXT) | instid1(VALU_DEP_4)
	v_cvt_f64_f32_e32 v[6:7], v44
	v_cvt_f64_f32_e32 v[8:9], v45
	s_delay_alu instid0(VALU_DEP_4) | instskip(NEXT) | instid1(VALU_DEP_4)
	v_cvt_f64_f32_e32 v[44:45], v46
	v_cvt_f64_f32_e32 v[46:47], v47
	v_mul_f64_e32 v[12:13], s[8:9], v[12:13]
	v_mul_f64_e32 v[14:15], s[8:9], v[14:15]
	v_cvt_f32_f64_e32 v16, v[16:17]
	v_cvt_f32_f64_e32 v21, v[34:35]
	v_add_co_u32 v34, s0, v32, s6
	s_wait_alu 0xf1ff
	v_add_co_ci_u32_e64 v35, s0, s7, v33, s0
	v_mul_f64_e32 v[40:41], s[8:9], v[40:41]
	v_cvt_f32_f64_e32 v4, v[4:5]
	v_cvt_f32_f64_e32 v5, v[10:11]
	;; [unrolled: 1-line block ×5, first 2 shown]
	v_mad_co_u64_u32 v[42:43], null, s4, v116, 0
	v_cvt_f32_f64_e32 v22, v[22:23]
	v_cvt_f32_f64_e32 v23, v[26:27]
	v_mul_f64_e32 v[6:7], s[8:9], v[6:7]
	v_mul_f64_e32 v[8:9], s[8:9], v[8:9]
	v_mul_f64_e32 v[44:45], s[8:9], v[44:45]
	v_mul_f64_e32 v[26:27], s[8:9], v[46:47]
	v_mul_f64_e32 v[46:47], s[8:9], v[48:49]
	v_mul_f64_e32 v[48:49], s[8:9], v[50:51]
	v_mul_f64_e32 v[50:51], s[8:9], v[52:53]
	v_add_co_u32 v52, s0, v34, s6
	s_wait_alu 0xf1ff
	v_add_co_ci_u32_e64 v53, s0, s7, v35, s0
	s_delay_alu instid0(VALU_DEP_2) | instskip(SKIP_1) | instid1(VALU_DEP_2)
	v_add_co_u32 v2, s0, v52, s6
	s_wait_alu 0xf1ff
	v_add_co_ci_u32_e64 v3, s0, s7, v53, s0
	s_clause 0x1
	global_store_b64 v[34:35], v[20:21], off
	global_store_b64 v[52:53], v[22:23], off
	global_store_b64 v[2:3], v[16:17], off
	v_add_co_u32 v38, s0, v2, s6
	s_wait_alu 0xf1ff
	v_add_co_ci_u32_e64 v39, s0, s7, v3, s0
	s_delay_alu instid0(VALU_DEP_2) | instskip(SKIP_1) | instid1(VALU_DEP_2)
	v_add_co_u32 v24, s0, v38, s6
	s_wait_alu 0xf1ff
	v_add_co_ci_u32_e64 v25, s0, s7, v39, s0
	global_store_b64 v[38:39], v[4:5], off
	global_store_b64 v[24:25], v[10:11], off
	v_cvt_f32_f64_e32 v6, v[6:7]
	v_cvt_f32_f64_e32 v7, v[8:9]
	;; [unrolled: 1-line block ×3, first 2 shown]
	v_mad_co_u64_u32 v[44:45], null, 0xe0, s4, v[24:25]
	v_cvt_f32_f64_e32 v29, v[26:27]
	v_cvt_f32_f64_e32 v26, v[46:47]
	;; [unrolled: 1-line block ×3, first 2 shown]
	v_mov_b32_e32 v8, v43
	v_cvt_f32_f64_e32 v12, v[14:15]
	v_cvt_f32_f64_e32 v13, v[40:41]
	v_mov_b32_e32 v9, v45
	v_cvt_f32_f64_e32 v14, v[48:49]
	v_cvt_f32_f64_e32 v15, v[50:51]
	v_add_co_u32 v4, s0, v44, s6
	s_delay_alu instid0(VALU_DEP_4) | instskip(SKIP_1) | instid1(VALU_DEP_2)
	v_mad_co_u64_u32 v[40:41], null, s5, v116, v[8:9]
	v_mad_co_u64_u32 v[8:9], null, 0xe0, s5, v[9:10]
	v_mov_b32_e32 v43, v40
	s_delay_alu instid0(VALU_DEP_2) | instskip(NEXT) | instid1(VALU_DEP_2)
	v_mov_b32_e32 v45, v8
	v_lshlrev_b64_e32 v[2:3], 3, v[42:43]
	s_wait_alu 0xf1ff
	s_delay_alu instid0(VALU_DEP_2) | instskip(NEXT) | instid1(VALU_DEP_2)
	v_add_co_ci_u32_e64 v5, s0, s7, v45, s0
	v_add_co_u32 v2, s0, v0, v2
	s_wait_alu 0xf1ff
	s_delay_alu instid0(VALU_DEP_3)
	v_add_co_ci_u32_e64 v3, s0, v1, v3, s0
	v_add_co_u32 v8, s0, v4, s6
	s_wait_alu 0xf1ff
	v_add_co_ci_u32_e64 v9, s0, s7, v5, s0
	global_store_b64 v[2:3], v[6:7], off
	v_add_co_u32 v2, s0, v8, s6
	s_wait_alu 0xf1ff
	v_add_co_ci_u32_e64 v3, s0, s7, v9, s0
	global_store_b64 v[44:45], v[28:29], off
	global_store_b64 v[4:5], v[26:27], off
	;; [unrolled: 1-line block ×4, first 2 shown]
	s_and_b32 exec_lo, exec_lo, vcc_lo
	s_cbranch_execz .LBB0_15
; %bb.14:
	ds_load_2addr_b64 v[2:5], v115 offset0:13 offset1:27
	s_load_b64 s[0:1], s[2:3], 0x68
	s_wait_dscnt 0x0
	s_wait_kmcnt 0x0
	v_dual_mul_f32 v6, s1, v3 :: v_dual_mul_f32 v7, s1, v2
	s_delay_alu instid0(VALU_DEP_1) | instskip(NEXT) | instid1(VALU_DEP_2)
	v_fmac_f32_e32 v6, s0, v2
	v_fma_f32 v7, s0, v3, -v7
	s_delay_alu instid0(VALU_DEP_2) | instskip(NEXT) | instid1(VALU_DEP_2)
	v_cvt_f64_f32_e32 v[2:3], v6
	v_cvt_f64_f32_e32 v[6:7], v7
	s_delay_alu instid0(VALU_DEP_2) | instskip(NEXT) | instid1(VALU_DEP_2)
	v_mul_f64_e32 v[2:3], s[8:9], v[2:3]
	v_mul_f64_e32 v[6:7], s[8:9], v[6:7]
	s_delay_alu instid0(VALU_DEP_2) | instskip(NEXT) | instid1(VALU_DEP_2)
	v_cvt_f32_f64_e32 v2, v[2:3]
	v_cvt_f32_f64_e32 v3, v[6:7]
	v_mad_co_u64_u32 v[6:7], null, 0x68, s4, v[0:1]
	s_delay_alu instid0(VALU_DEP_1)
	v_mad_co_u64_u32 v[7:8], null, 0x68, s5, v[7:8]
	v_mad_co_u64_u32 v[8:9], null, 0xd8, s4, v[0:1]
	global_store_b64 v[6:7], v[2:3], off
	s_load_b64 s[0:1], s[2:3], 0xd8
	s_wait_kmcnt 0x0
	v_dual_mul_f32 v3, s1, v4 :: v_dual_mul_f32 v2, s1, v5
	s_delay_alu instid0(VALU_DEP_1) | instskip(NEXT) | instid1(VALU_DEP_2)
	v_fmac_f32_e32 v2, s0, v4
	v_fma_f32 v4, s0, v5, -v3
	s_delay_alu instid0(VALU_DEP_2) | instskip(NEXT) | instid1(VALU_DEP_2)
	v_cvt_f64_f32_e32 v[2:3], v2
	v_cvt_f64_f32_e32 v[4:5], v4
	s_delay_alu instid0(VALU_DEP_2) | instskip(NEXT) | instid1(VALU_DEP_2)
	v_mul_f64_e32 v[2:3], s[8:9], v[2:3]
	v_mul_f64_e32 v[4:5], s[8:9], v[4:5]
	s_delay_alu instid0(VALU_DEP_2) | instskip(NEXT) | instid1(VALU_DEP_2)
	v_cvt_f32_f64_e32 v6, v[2:3]
	v_cvt_f32_f64_e32 v7, v[4:5]
	v_mov_b32_e32 v2, v9
	s_delay_alu instid0(VALU_DEP_1) | instskip(NEXT) | instid1(VALU_DEP_1)
	v_mad_co_u64_u32 v[2:3], null, 0xd8, s5, v[2:3]
	v_mov_b32_e32 v9, v2
	ds_load_2addr_b64 v[2:5], v115 offset0:41 offset1:55
	global_store_b64 v[8:9], v[6:7], off
	s_load_b64 s[0:1], s[2:3], 0x148
	s_wait_dscnt 0x0
	s_wait_kmcnt 0x0
	v_dual_mul_f32 v6, s1, v3 :: v_dual_mul_f32 v7, s1, v2
	s_delay_alu instid0(VALU_DEP_1) | instskip(NEXT) | instid1(VALU_DEP_2)
	v_fmac_f32_e32 v6, s0, v2
	v_fma_f32 v7, s0, v3, -v7
	s_delay_alu instid0(VALU_DEP_2) | instskip(NEXT) | instid1(VALU_DEP_2)
	v_cvt_f64_f32_e32 v[2:3], v6
	v_cvt_f64_f32_e32 v[6:7], v7
	s_delay_alu instid0(VALU_DEP_2) | instskip(NEXT) | instid1(VALU_DEP_2)
	v_mul_f64_e32 v[2:3], s[8:9], v[2:3]
	v_mul_f64_e32 v[6:7], s[8:9], v[6:7]
	s_delay_alu instid0(VALU_DEP_2) | instskip(NEXT) | instid1(VALU_DEP_2)
	v_cvt_f32_f64_e32 v2, v[2:3]
	v_cvt_f32_f64_e32 v3, v[6:7]
	v_mad_co_u64_u32 v[6:7], null, 0x148, s4, v[0:1]
	s_delay_alu instid0(VALU_DEP_1)
	v_mad_co_u64_u32 v[7:8], null, 0x148, s5, v[7:8]
	v_mad_co_u64_u32 v[8:9], null, 0x1b8, s4, v[0:1]
	global_store_b64 v[6:7], v[2:3], off
	s_load_b64 s[0:1], s[2:3], 0x1b8
	s_wait_kmcnt 0x0
	v_dual_mul_f32 v2, s1, v5 :: v_dual_mul_f32 v3, s1, v4
	s_delay_alu instid0(VALU_DEP_1) | instskip(NEXT) | instid1(VALU_DEP_2)
	v_fmac_f32_e32 v2, s0, v4
	v_fma_f32 v4, s0, v5, -v3
	s_delay_alu instid0(VALU_DEP_2) | instskip(NEXT) | instid1(VALU_DEP_2)
	v_cvt_f64_f32_e32 v[2:3], v2
	v_cvt_f64_f32_e32 v[4:5], v4
	s_delay_alu instid0(VALU_DEP_2) | instskip(NEXT) | instid1(VALU_DEP_2)
	v_mul_f64_e32 v[2:3], s[8:9], v[2:3]
	v_mul_f64_e32 v[4:5], s[8:9], v[4:5]
	s_delay_alu instid0(VALU_DEP_2) | instskip(NEXT) | instid1(VALU_DEP_2)
	v_cvt_f32_f64_e32 v6, v[2:3]
	v_cvt_f32_f64_e32 v7, v[4:5]
	v_mov_b32_e32 v2, v9
	s_delay_alu instid0(VALU_DEP_1) | instskip(NEXT) | instid1(VALU_DEP_1)
	v_mad_co_u64_u32 v[2:3], null, 0x1b8, s5, v[2:3]
	v_mov_b32_e32 v9, v2
	ds_load_2addr_b64 v[2:5], v115 offset0:69 offset1:83
	global_store_b64 v[8:9], v[6:7], off
	;; [unrolled: 42-line block ×5, first 2 shown]
	s_load_b64 s[0:1], s[2:3], 0x4c8
	s_wait_dscnt 0x0
	s_wait_kmcnt 0x0
	v_dual_mul_f32 v6, s1, v3 :: v_dual_mul_f32 v7, s1, v2
	s_delay_alu instid0(VALU_DEP_1) | instskip(NEXT) | instid1(VALU_DEP_2)
	v_fmac_f32_e32 v6, s0, v2
	v_fma_f32 v7, s0, v3, -v7
	s_delay_alu instid0(VALU_DEP_2) | instskip(NEXT) | instid1(VALU_DEP_2)
	v_cvt_f64_f32_e32 v[2:3], v6
	v_cvt_f64_f32_e32 v[6:7], v7
	s_delay_alu instid0(VALU_DEP_2) | instskip(NEXT) | instid1(VALU_DEP_2)
	v_mul_f64_e32 v[2:3], s[8:9], v[2:3]
	v_mul_f64_e32 v[6:7], s[8:9], v[6:7]
	s_delay_alu instid0(VALU_DEP_2) | instskip(NEXT) | instid1(VALU_DEP_2)
	v_cvt_f32_f64_e32 v2, v[2:3]
	v_cvt_f32_f64_e32 v3, v[6:7]
	v_mad_co_u64_u32 v[6:7], null, 0x4c8, s4, v[0:1]
	s_delay_alu instid0(VALU_DEP_1) | instskip(SKIP_4) | instid1(VALU_DEP_1)
	v_mad_co_u64_u32 v[7:8], null, 0x4c8, s5, v[7:8]
	global_store_b64 v[6:7], v[2:3], off
	s_load_b64 s[0:1], s[2:3], 0x538
	s_wait_kmcnt 0x0
	v_dual_mul_f32 v2, s1, v5 :: v_dual_mul_f32 v3, s1, v4
	v_fmac_f32_e32 v2, s0, v4
	s_delay_alu instid0(VALU_DEP_2) | instskip(NEXT) | instid1(VALU_DEP_2)
	v_fma_f32 v4, s0, v5, -v3
	v_cvt_f64_f32_e32 v[2:3], v2
	s_delay_alu instid0(VALU_DEP_2) | instskip(NEXT) | instid1(VALU_DEP_2)
	v_cvt_f64_f32_e32 v[4:5], v4
	v_mul_f64_e32 v[2:3], s[8:9], v[2:3]
	s_delay_alu instid0(VALU_DEP_2) | instskip(NEXT) | instid1(VALU_DEP_2)
	v_mul_f64_e32 v[4:5], s[8:9], v[4:5]
	v_cvt_f32_f64_e32 v2, v[2:3]
	s_delay_alu instid0(VALU_DEP_2) | instskip(SKIP_2) | instid1(VALU_DEP_2)
	v_cvt_f32_f64_e32 v3, v[4:5]
	v_mad_co_u64_u32 v[4:5], null, 0x538, s4, v[0:1]
	v_mad_co_u64_u32 v[0:1], null, 0x5a8, s4, v[0:1]
	;; [unrolled: 1-line block ×3, first 2 shown]
	ds_load_b64 v[6:7], v115 offset:1448
	global_store_b64 v[4:5], v[2:3], off
	s_load_b64 s[0:1], s[2:3], 0x5a8
	s_wait_dscnt 0x0
	s_wait_kmcnt 0x0
	v_dual_mul_f32 v2, s1, v7 :: v_dual_mul_f32 v3, s1, v6
	s_delay_alu instid0(VALU_DEP_1) | instskip(NEXT) | instid1(VALU_DEP_2)
	v_fmac_f32_e32 v2, s0, v6
	v_fma_f32 v4, s0, v7, -v3
	s_delay_alu instid0(VALU_DEP_2) | instskip(NEXT) | instid1(VALU_DEP_2)
	v_cvt_f64_f32_e32 v[2:3], v2
	v_cvt_f64_f32_e32 v[4:5], v4
	s_delay_alu instid0(VALU_DEP_2) | instskip(NEXT) | instid1(VALU_DEP_2)
	v_mul_f64_e32 v[2:3], s[8:9], v[2:3]
	v_mul_f64_e32 v[4:5], s[8:9], v[4:5]
	s_delay_alu instid0(VALU_DEP_2) | instskip(NEXT) | instid1(VALU_DEP_2)
	v_cvt_f32_f64_e32 v2, v[2:3]
	v_cvt_f32_f64_e32 v3, v[4:5]
	s_delay_alu instid0(VALU_DEP_2) | instskip(NEXT) | instid1(VALU_DEP_1)
	v_mad_co_u64_u32 v[4:5], null, 0x5a8, s5, v[1:2]
	v_mov_b32_e32 v1, v4
	global_store_b64 v[0:1], v[2:3], off
.LBB0_15:
	s_nop 0
	s_sendmsg sendmsg(MSG_DEALLOC_VGPRS)
	s_endpgm
	.section	.rodata,"a",@progbits
	.p2align	6, 0x0
	.amdhsa_kernel bluestein_single_back_len182_dim1_sp_op_CI_CI
		.amdhsa_group_segment_fixed_size 5824
		.amdhsa_private_segment_fixed_size 0
		.amdhsa_kernarg_size 104
		.amdhsa_user_sgpr_count 2
		.amdhsa_user_sgpr_dispatch_ptr 0
		.amdhsa_user_sgpr_queue_ptr 0
		.amdhsa_user_sgpr_kernarg_segment_ptr 1
		.amdhsa_user_sgpr_dispatch_id 0
		.amdhsa_user_sgpr_private_segment_size 0
		.amdhsa_wavefront_size32 1
		.amdhsa_uses_dynamic_stack 0
		.amdhsa_enable_private_segment 0
		.amdhsa_system_sgpr_workgroup_id_x 1
		.amdhsa_system_sgpr_workgroup_id_y 0
		.amdhsa_system_sgpr_workgroup_id_z 0
		.amdhsa_system_sgpr_workgroup_info 0
		.amdhsa_system_vgpr_workitem_id 0
		.amdhsa_next_free_vgpr 198
		.amdhsa_next_free_sgpr 40
		.amdhsa_reserve_vcc 1
		.amdhsa_float_round_mode_32 0
		.amdhsa_float_round_mode_16_64 0
		.amdhsa_float_denorm_mode_32 3
		.amdhsa_float_denorm_mode_16_64 3
		.amdhsa_fp16_overflow 0
		.amdhsa_workgroup_processor_mode 1
		.amdhsa_memory_ordered 1
		.amdhsa_forward_progress 0
		.amdhsa_round_robin_scheduling 0
		.amdhsa_exception_fp_ieee_invalid_op 0
		.amdhsa_exception_fp_denorm_src 0
		.amdhsa_exception_fp_ieee_div_zero 0
		.amdhsa_exception_fp_ieee_overflow 0
		.amdhsa_exception_fp_ieee_underflow 0
		.amdhsa_exception_fp_ieee_inexact 0
		.amdhsa_exception_int_div_zero 0
	.end_amdhsa_kernel
	.text
.Lfunc_end0:
	.size	bluestein_single_back_len182_dim1_sp_op_CI_CI, .Lfunc_end0-bluestein_single_back_len182_dim1_sp_op_CI_CI
                                        ; -- End function
	.section	.AMDGPU.csdata,"",@progbits
; Kernel info:
; codeLenInByte = 23372
; NumSgprs: 42
; NumVgprs: 198
; ScratchSize: 0
; MemoryBound: 0
; FloatMode: 240
; IeeeMode: 1
; LDSByteSize: 5824 bytes/workgroup (compile time only)
; SGPRBlocks: 5
; VGPRBlocks: 24
; NumSGPRsForWavesPerEU: 42
; NumVGPRsForWavesPerEU: 198
; Occupancy: 7
; WaveLimiterHint : 1
; COMPUTE_PGM_RSRC2:SCRATCH_EN: 0
; COMPUTE_PGM_RSRC2:USER_SGPR: 2
; COMPUTE_PGM_RSRC2:TRAP_HANDLER: 0
; COMPUTE_PGM_RSRC2:TGID_X_EN: 1
; COMPUTE_PGM_RSRC2:TGID_Y_EN: 0
; COMPUTE_PGM_RSRC2:TGID_Z_EN: 0
; COMPUTE_PGM_RSRC2:TIDIG_COMP_CNT: 0
	.text
	.p2alignl 7, 3214868480
	.fill 96, 4, 3214868480
	.type	__hip_cuid_64eb2c9de9f65c8a,@object ; @__hip_cuid_64eb2c9de9f65c8a
	.section	.bss,"aw",@nobits
	.globl	__hip_cuid_64eb2c9de9f65c8a
__hip_cuid_64eb2c9de9f65c8a:
	.byte	0                               ; 0x0
	.size	__hip_cuid_64eb2c9de9f65c8a, 1

	.ident	"AMD clang version 19.0.0git (https://github.com/RadeonOpenCompute/llvm-project roc-6.4.0 25133 c7fe45cf4b819c5991fe208aaa96edf142730f1d)"
	.section	".note.GNU-stack","",@progbits
	.addrsig
	.addrsig_sym __hip_cuid_64eb2c9de9f65c8a
	.amdgpu_metadata
---
amdhsa.kernels:
  - .args:
      - .actual_access:  read_only
        .address_space:  global
        .offset:         0
        .size:           8
        .value_kind:     global_buffer
      - .actual_access:  read_only
        .address_space:  global
        .offset:         8
        .size:           8
        .value_kind:     global_buffer
      - .actual_access:  read_only
        .address_space:  global
        .offset:         16
        .size:           8
        .value_kind:     global_buffer
      - .actual_access:  read_only
        .address_space:  global
        .offset:         24
        .size:           8
        .value_kind:     global_buffer
      - .actual_access:  read_only
        .address_space:  global
        .offset:         32
        .size:           8
        .value_kind:     global_buffer
      - .offset:         40
        .size:           8
        .value_kind:     by_value
      - .address_space:  global
        .offset:         48
        .size:           8
        .value_kind:     global_buffer
      - .address_space:  global
        .offset:         56
        .size:           8
        .value_kind:     global_buffer
      - .address_space:  global
        .offset:         64
        .size:           8
        .value_kind:     global_buffer
      - .address_space:  global
        .offset:         72
        .size:           8
        .value_kind:     global_buffer
      - .offset:         80
        .size:           4
        .value_kind:     by_value
      - .address_space:  global
        .offset:         88
        .size:           8
        .value_kind:     global_buffer
      - .address_space:  global
        .offset:         96
        .size:           8
        .value_kind:     global_buffer
    .group_segment_fixed_size: 5824
    .kernarg_segment_align: 8
    .kernarg_segment_size: 104
    .language:       OpenCL C
    .language_version:
      - 2
      - 0
    .max_flat_workgroup_size: 52
    .name:           bluestein_single_back_len182_dim1_sp_op_CI_CI
    .private_segment_fixed_size: 0
    .sgpr_count:     42
    .sgpr_spill_count: 0
    .symbol:         bluestein_single_back_len182_dim1_sp_op_CI_CI.kd
    .uniform_work_group_size: 1
    .uses_dynamic_stack: false
    .vgpr_count:     198
    .vgpr_spill_count: 0
    .wavefront_size: 32
    .workgroup_processor_mode: 1
amdhsa.target:   amdgcn-amd-amdhsa--gfx1201
amdhsa.version:
  - 1
  - 2
...

	.end_amdgpu_metadata
